;; amdgpu-corpus repo=zjin-lcf/HeCBench kind=compiled arch=gfx950 opt=O3
	.amdgcn_target "amdgcn-amd-amdhsa--gfx950"
	.amdhsa_code_object_version 6
	.text
	.protected	_Z13check_connectPK15HIP_vector_typeIfLj3EEPjii ; -- Begin function _Z13check_connectPK15HIP_vector_typeIfLj3EEPjii
	.globl	_Z13check_connectPK15HIP_vector_typeIfLj3EEPjii
	.p2align	8
	.type	_Z13check_connectPK15HIP_vector_typeIfLj3EEPjii,@function
_Z13check_connectPK15HIP_vector_typeIfLj3EEPjii: ; @_Z13check_connectPK15HIP_vector_typeIfLj3EEPjii
; %bb.0:
	s_load_dwordx2 s[10:11], s[0:1], 0x10
	s_load_dword s3, s[0:1], 0x24
	s_and_b32 s2, s2, 0xffffff
	s_load_dwordx2 s[8:9], s[0:1], 0x0
	s_mov_b32 s12, 0x3de978d5
	s_waitcnt lgkmcnt(0)
	v_cvt_f32_u32_e32 v1, s10
	s_and_b32 s3, s3, 0xffff
	s_sub_i32 s4, 0, s10
	s_mul_i32 s2, s2, s3
	v_rcp_iflag_f32_e32 v1, v1
	v_add_u32_e32 v4, s2, v0
	s_mov_b32 s14, 0x3f10624e
	s_mov_b32 s15, 0x3f36872b
	v_mul_f32_e32 v1, 0x4f7ffffe, v1
	v_cvt_u32_f32_e32 v1, v1
	s_mov_b32 s16, 0x437f0000
	s_mov_b32 s20, s15
	;; [unrolled: 1-line block ×3, first 2 shown]
	v_mul_lo_u32 v0, s4, v1
	v_mul_hi_u32 v0, v1, v0
	v_add_u32_e32 v0, v1, v0
	v_mul_hi_u32 v0, v4, v0
	v_mul_lo_u32 v1, v0, s10
	v_sub_u32_e32 v1, v4, v1
	v_add_u32_e32 v2, 1, v0
	v_cmp_le_u32_e32 vcc, s10, v1
	s_nop 1
	v_cndmask_b32_e32 v0, v0, v2, vcc
	v_subrev_u32_e32 v2, s10, v1
	v_cndmask_b32_e32 v1, v1, v2, vcc
	v_add_u32_e32 v2, 1, v0
	v_cmp_le_u32_e32 vcc, s10, v1
	s_nop 1
	v_cndmask_b32_e32 v12, v0, v2, vcc
	v_mul_lo_u32 v3, v12, s10
	v_sub_u32_e32 v6, v4, v3
	v_mad_u64_u32 v[0:1], s[2:3], v4, 12, s[8:9]
	v_cmp_lt_i32_e64 s[2:3], 0, v12
	v_cmp_lt_i32_e32 vcc, 0, v6
	v_add_u32_e32 v16, -1, v12
	s_and_b64 s[4:5], s[2:3], vcc
	v_add_u32_e32 v7, -1, v6
	v_cndmask_b32_e64 v5, v12, v16, s[4:5]
	v_cndmask_b32_e64 v8, v6, v7, s[4:5]
	v_mad_u64_u32 v[8:9], s[6:7], v5, s10, v[8:9]
	v_mad_i64_i32 v[8:9], s[6:7], v8, 12, s[8:9]
	global_load_dwordx3 v[0:2], v[0:1], off
	s_mov_b32 s6, 0x3f1645a2
	global_load_dwordx3 v[8:10], v[8:9], off
	s_mov_b32 s7, 0x3e991687
	s_mov_b32 s18, s7
	;; [unrolled: 1-line block ×3, first 2 shown]
	v_mov_b32_e32 v5, 0
	s_waitcnt vmcnt(1)
	v_mov_b32_e32 v14, v2
	v_mov_b32_e32 v18, v2
	s_waitcnt vmcnt(0)
	v_pk_mov_b32 v[20:21], v[0:1], v[8:9] op_sel:[1,0]
	v_mov_b32_e32 v1, v9
	v_mov_b32_e32 v19, v8
	v_pk_mul_f32 v[8:9], v[0:1], s[18:19]
	v_mov_b32_e32 v15, v10
	v_pk_fma_f32 v[8:9], v[20:21], s[6:7], v[8:9]
	v_mov_b32_e32 v1, v10
	v_pk_fma_f32 v[8:9], v[14:15], s[12:13], v[8:9] op_sel_hi:[1,0,1]
	s_nop 0
	v_pk_add_f32 v[10:11], v[18:19], v[8:9] neg_lo:[0,1] neg_hi:[0,1]
	v_cmp_nlt_f32_e64 s[6:7], 1.0, v9
	v_pk_fma_f32 v[10:11], v[10:11], s[14:15], 0.5 op_sel_hi:[1,1,0]
	v_pk_add_f32 v[0:1], v[0:1], v[8:9] neg_lo:[0,1] neg_hi:[0,1]
	v_cndmask_b32_e64 v15, 1.0, v9, s[6:7]
	v_cmp_nlt_f32_e64 s[6:7], 1.0, v8
	v_pk_fma_f32 v[18:19], v[0:1], s[20:21], 0.5 op_sel_hi:[1,1,0]
	s_nop 0
	v_cndmask_b32_e64 v14, 1.0, v8, s[6:7]
	v_cmp_nlt_f32_e64 s[6:7], 1.0, v11
	v_pk_mul_f32 v[0:1], v[14:15], s[16:17] op_sel_hi:[1,0]
	s_nop 0
	v_cndmask_b32_e64 v15, 1.0, v11, s[6:7]
	v_cmp_nlt_f32_e64 s[6:7], 1.0, v10
	s_nop 1
	v_cndmask_b32_e64 v14, 1.0, v10, s[6:7]
	v_cmp_nlt_f32_e64 s[6:7], 1.0, v19
	v_pk_mul_f32 v[14:15], v[14:15], s[16:17] op_sel_hi:[1,0]
	s_nop 0
	v_cndmask_b32_e64 v21, 1.0, v19, s[6:7]
	v_cmp_nlt_f32_e64 s[6:7], 1.0, v18
	s_nop 1
	v_cndmask_b32_e64 v20, 1.0, v18, s[6:7]
	v_cmp_ngt_f32_e64 s[6:7], 0, v8
	v_pk_mul_f32 v[20:21], v[20:21], s[16:17] op_sel_hi:[1,0]
	s_nop 0
	v_cndmask_b32_e64 v0, 0, v0, s[6:7]
	v_cmp_ngt_f32_e64 s[6:7], 0, v9
	v_cvt_u32_f32_e32 v8, v0
	s_nop 0
	v_cndmask_b32_e64 v1, 0, v1, s[6:7]
	v_cmp_ngt_f32_e64 s[6:7], 0, v19
	v_cvt_u32_f32_e32 v1, v1
	s_nop 0
	v_cndmask_b32_e64 v0, 0, v21, s[6:7]
	v_cmp_ngt_f32_e64 s[6:7], 0, v18
	v_cvt_u32_f32_sdwa v0, v0 dst_sel:WORD_1 dst_unused:UNUSED_PAD src0_sel:DWORD
	s_nop 0
	v_cndmask_b32_e64 v2, 0, v20, s[6:7]
	v_cmp_ngt_f32_e64 s[6:7], 0, v11
	v_cvt_u32_f32_e32 v2, v2
	v_mov_b32_e32 v11, v5
	v_cndmask_b32_e64 v9, 0, v15, s[6:7]
	v_cmp_ngt_f32_e64 s[6:7], 0, v10
	v_cvt_u32_f32_e32 v9, v9
	v_lshlrev_b32_e32 v2, 8, v2
	v_cndmask_b32_e64 v10, 0, v14, s[6:7]
	v_cvt_u32_f32_sdwa v10, v10 dst_sel:WORD_1 dst_unused:UNUSED_PAD src0_sel:DWORD
	v_lshlrev_b32_e32 v9, 8, v9
	v_or_b32_e32 v0, v0, v9
	v_or_b32_e32 v0, v0, v1
	;; [unrolled: 1-line block ×4, first 2 shown]
	s_and_saveexec_b64 s[12:13], s[4:5]
	s_cbranch_execz .LBB0_4
; %bb.1:
	v_sub_u32_sdwa v1, v8, v1 dst_sel:DWORD dst_unused:UNUSED_PAD src0_sel:BYTE_0 src1_sel:BYTE_0
	v_sub_u32_e32 v2, 0, v1
	v_max_i32_e32 v1, v1, v2
	s_movk_i32 s6, 0xff
	v_mov_b32_e32 v11, 0
	v_cmp_gt_u32_e64 s[4:5], 49, v1
	s_and_saveexec_b64 s[14:15], s[4:5]
	s_cbranch_execz .LBB0_3
; %bb.2:
	v_and_b32_sdwa v1, v0, s6 dst_sel:DWORD dst_unused:UNUSED_PAD src0_sel:WORD_1 src1_sel:DWORD
	v_sub_u32_sdwa v0, v9, v0 dst_sel:DWORD dst_unused:UNUSED_PAD src0_sel:BYTE_1 src1_sel:BYTE_1
	v_sub_u32_e32 v10, 0, v0
	v_and_b32_sdwa v2, v9, s6 dst_sel:DWORD dst_unused:UNUSED_PAD src0_sel:WORD_1 src1_sel:DWORD
	v_max_i32_e32 v0, v0, v10
	v_cmp_gt_u32_e64 s[4:5], 8, v0
	v_sub_u32_e32 v0, v2, v1
	v_sub_u32_e32 v1, 0, v0
	v_max_i32_e32 v0, v0, v1
	v_cmp_gt_u32_e64 s[6:7], 7, v0
	s_and_b64 s[4:5], s[4:5], s[6:7]
	v_cndmask_b32_e64 v11, 0, 1, s[4:5]
.LBB0_3:
	s_or_b64 exec, exec, s[14:15]
.LBB0_4:
	s_or_b64 exec, exec, s[12:13]
	v_mov_b32_e32 v13, 0
	s_and_saveexec_b64 s[12:13], s[2:3]
	s_cbranch_execz .LBB0_8
; %bb.5:
	v_cndmask_b32_e64 v0, v12, v16, s[2:3]
	v_mad_u64_u32 v[0:1], s[4:5], v0, s10, v[6:7]
	v_mad_i64_i32 v[0:1], s[4:5], v0, 12, s[8:9]
	global_load_dwordx3 v[0:2], v[0:1], off
	s_mov_b32 s4, 0x3f1645a2
	s_mov_b32 s5, 0x3de978d5
	s_movk_i32 s6, 0xff
	v_mov_b32_e32 v13, 0
	s_waitcnt vmcnt(0)
	v_mov_b32_e32 v14, v1
	v_mov_b32_e32 v15, v2
	v_pk_mul_f32 v[14:15], v[14:15], s[4:5]
	s_nop 0
	v_fmamk_f32 v1, v0, 0x3e991687, v14
	v_add_f32_e32 v10, v15, v1
	v_cmp_nlt_f32_e64 s[4:5], 1.0, v10
	s_nop 1
	v_cndmask_b32_e64 v1, 1.0, v10, s[4:5]
	v_mul_f32_e32 v1, 0x437f0000, v1
	v_cmp_ngt_f32_e64 s[4:5], 0, v10
	s_nop 1
	v_cndmask_b32_e64 v1, 0, v1, s[4:5]
	v_cvt_u32_f32_e32 v1, v1
	v_sub_u32_sdwa v14, v8, v1 dst_sel:DWORD dst_unused:UNUSED_PAD src0_sel:BYTE_0 src1_sel:BYTE_0
	v_sub_u32_e32 v15, 0, v14
	v_max_i32_e32 v14, v14, v15
	v_cmp_gt_u32_e64 s[4:5], 49, v14
	s_and_saveexec_b64 s[14:15], s[4:5]
	s_cbranch_execz .LBB0_7
; %bb.6:
	v_mov_b32_e32 v14, v2
	v_mov_b32_e32 v15, v0
	s_mov_b32 s4, 0x3f10624e
	v_pk_add_f32 v[14:15], v[14:15], v[10:11] op_sel_hi:[1,0] neg_lo:[0,1] neg_hi:[0,1]
	s_mov_b32 s5, 0x3f36872b
	v_pk_fma_f32 v[14:15], v[14:15], s[4:5], 0.5 op_sel_hi:[1,1,0]
	s_nop 0
	v_cmp_nlt_f32_e64 s[4:5], 1.0, v15
	s_nop 1
	v_cndmask_b32_e64 v0, 1.0, v15, s[4:5]
	v_cmp_nlt_f32_e64 s[4:5], 1.0, v14
	v_mul_f32_e32 v0, 0x437f0000, v0
	v_cvt_u32_f32_e32 v0, v0
	v_cndmask_b32_e64 v2, 1.0, v14, s[4:5]
	v_mul_f32_e32 v2, 0x437f0000, v2
	v_cvt_u32_f32_sdwa v2, v2 dst_sel:WORD_1 dst_unused:UNUSED_PAD src0_sel:DWORD
	v_cmp_ngt_f32_e64 s[4:5], 0, v14
	v_lshlrev_b32_e32 v0, 8, v0
	s_nop 0
	v_cndmask_b32_e64 v2, 0, v2, s[4:5]
	v_cmp_ngt_f32_e64 s[4:5], 0, v15
	s_nop 1
	v_cndmask_b32_e64 v0, 0, v0, s[4:5]
	v_or3_b32 v0, v2, v0, v1
	v_and_b32_sdwa v1, v0, s6 dst_sel:DWORD dst_unused:UNUSED_PAD src0_sel:WORD_1 src1_sel:DWORD
	v_lshrrev_b32_e32 v0, 8, v0
	v_sub_u32_sdwa v0, v9, v0 dst_sel:DWORD dst_unused:UNUSED_PAD src0_sel:BYTE_1 src1_sel:BYTE_0
	v_sub_u32_e32 v2, 0, v0
	v_max_i32_e32 v0, v0, v2
	v_cmp_gt_u32_e64 s[4:5], 8, v0
	v_sub_u32_sdwa v0, v9, v1 dst_sel:DWORD dst_unused:UNUSED_PAD src0_sel:BYTE_2 src1_sel:DWORD
	v_sub_u32_e32 v1, 0, v0
	v_max_i32_e32 v0, v0, v1
	v_cmp_gt_u32_e64 s[6:7], 7, v0
	s_and_b64 s[4:5], s[4:5], s[6:7]
	v_cndmask_b32_e64 v13, 0, 2, s[4:5]
.LBB0_7:
	s_or_b64 exec, exec, s[14:15]
.LBB0_8:
	s_or_b64 exec, exec, s[12:13]
	s_add_i32 s4, s10, -1
	v_cmp_gt_i32_e64 s[4:5], s4, v6
	s_and_b64 s[2:3], s[2:3], s[4:5]
	v_add_u32_e32 v18, 1, v6
	v_mov_b32_e32 v14, 0
	v_mov_b32_e32 v15, 0
	s_and_saveexec_b64 s[12:13], s[2:3]
	s_cbranch_execz .LBB0_12
; %bb.9:
	v_cndmask_b32_e64 v1, v12, v16, s[2:3]
	v_cndmask_b32_e64 v0, v6, v18, s[2:3]
	v_mad_u64_u32 v[0:1], s[2:3], v1, s10, v[0:1]
	v_mad_i64_i32 v[0:1], s[2:3], v0, 12, s[8:9]
	global_load_dwordx3 v[0:2], v[0:1], off
	s_mov_b32 s2, 0x3f1645a2
	s_mov_b32 s3, 0x3de978d5
	s_movk_i32 s6, 0xff
	v_mov_b32_e32 v15, 0
	s_waitcnt vmcnt(0)
	v_mov_b32_e32 v16, v1
	v_mov_b32_e32 v17, v2
	v_pk_mul_f32 v[16:17], v[16:17], s[2:3]
	s_nop 0
	v_fmamk_f32 v1, v0, 0x3e991687, v16
	v_add_f32_e32 v10, v17, v1
	v_cmp_nlt_f32_e64 s[2:3], 1.0, v10
	s_nop 1
	v_cndmask_b32_e64 v1, 1.0, v10, s[2:3]
	v_mul_f32_e32 v1, 0x437f0000, v1
	v_cmp_ngt_f32_e64 s[2:3], 0, v10
	s_nop 1
	v_cndmask_b32_e64 v1, 0, v1, s[2:3]
	v_cvt_u32_f32_e32 v1, v1
	v_sub_u32_sdwa v16, v8, v1 dst_sel:DWORD dst_unused:UNUSED_PAD src0_sel:BYTE_0 src1_sel:BYTE_0
	v_sub_u32_e32 v17, 0, v16
	v_max_i32_e32 v16, v16, v17
	v_cmp_gt_u32_e64 s[2:3], 49, v16
	s_and_saveexec_b64 s[14:15], s[2:3]
	s_cbranch_execz .LBB0_11
; %bb.10:
	v_mov_b32_e32 v16, v2
	v_mov_b32_e32 v17, v0
	s_mov_b32 s2, 0x3f10624e
	v_pk_add_f32 v[16:17], v[16:17], v[10:11] op_sel_hi:[1,0] neg_lo:[0,1] neg_hi:[0,1]
	s_mov_b32 s3, 0x3f36872b
	v_pk_fma_f32 v[16:17], v[16:17], s[2:3], 0.5 op_sel_hi:[1,1,0]
	s_nop 0
	v_cmp_nlt_f32_e64 s[2:3], 1.0, v17
	s_nop 1
	v_cndmask_b32_e64 v0, 1.0, v17, s[2:3]
	v_cmp_nlt_f32_e64 s[2:3], 1.0, v16
	v_mul_f32_e32 v0, 0x437f0000, v0
	v_cvt_u32_f32_e32 v0, v0
	v_cndmask_b32_e64 v2, 1.0, v16, s[2:3]
	v_mul_f32_e32 v2, 0x437f0000, v2
	v_cvt_u32_f32_sdwa v2, v2 dst_sel:WORD_1 dst_unused:UNUSED_PAD src0_sel:DWORD
	v_cmp_ngt_f32_e64 s[2:3], 0, v16
	v_lshlrev_b32_e32 v0, 8, v0
	s_nop 0
	v_cndmask_b32_e64 v2, 0, v2, s[2:3]
	v_cmp_ngt_f32_e64 s[2:3], 0, v17
	s_nop 1
	v_cndmask_b32_e64 v0, 0, v0, s[2:3]
	v_or3_b32 v0, v2, v0, v1
	v_and_b32_sdwa v1, v0, s6 dst_sel:DWORD dst_unused:UNUSED_PAD src0_sel:WORD_1 src1_sel:DWORD
	v_lshrrev_b32_e32 v0, 8, v0
	v_sub_u32_sdwa v0, v9, v0 dst_sel:DWORD dst_unused:UNUSED_PAD src0_sel:BYTE_1 src1_sel:BYTE_0
	v_sub_u32_e32 v2, 0, v0
	v_max_i32_e32 v0, v0, v2
	v_cmp_gt_u32_e64 s[2:3], 8, v0
	v_sub_u32_sdwa v0, v9, v1 dst_sel:DWORD dst_unused:UNUSED_PAD src0_sel:BYTE_2 src1_sel:DWORD
	v_sub_u32_e32 v1, 0, v0
	v_max_i32_e32 v0, v0, v1
	v_cmp_gt_u32_e64 s[6:7], 7, v0
	s_and_b64 s[2:3], s[2:3], s[6:7]
	v_cndmask_b32_e64 v15, 0, 4, s[2:3]
.LBB0_11:
	s_or_b64 exec, exec, s[14:15]
.LBB0_12:
	s_or_b64 exec, exec, s[12:13]
	s_and_saveexec_b64 s[12:13], s[4:5]
	s_cbranch_execz .LBB0_16
; %bb.13:
	v_cndmask_b32_e64 v0, v6, v18, s[4:5]
	v_add_u32_e32 v0, v0, v3
	v_mad_i64_i32 v[0:1], s[2:3], v0, 12, s[8:9]
	global_load_dwordx3 v[0:2], v[0:1], off
	s_mov_b32 s2, 0x3f1645a2
	s_mov_b32 s3, 0x3de978d5
	s_movk_i32 s6, 0xff
	v_mov_b32_e32 v14, 0
	s_waitcnt vmcnt(0)
	v_mov_b32_e32 v16, v1
	v_mov_b32_e32 v17, v2
	v_pk_mul_f32 v[16:17], v[16:17], s[2:3]
	s_nop 0
	v_fmamk_f32 v1, v0, 0x3e991687, v16
	v_add_f32_e32 v10, v17, v1
	v_cmp_nlt_f32_e64 s[2:3], 1.0, v10
	s_nop 1
	v_cndmask_b32_e64 v1, 1.0, v10, s[2:3]
	v_mul_f32_e32 v1, 0x437f0000, v1
	v_cmp_ngt_f32_e64 s[2:3], 0, v10
	s_nop 1
	v_cndmask_b32_e64 v1, 0, v1, s[2:3]
	v_cvt_u32_f32_e32 v1, v1
	v_sub_u32_sdwa v16, v8, v1 dst_sel:DWORD dst_unused:UNUSED_PAD src0_sel:BYTE_0 src1_sel:BYTE_0
	v_sub_u32_e32 v17, 0, v16
	v_max_i32_e32 v16, v16, v17
	v_cmp_gt_u32_e64 s[2:3], 49, v16
	s_and_saveexec_b64 s[14:15], s[2:3]
	s_cbranch_execz .LBB0_15
; %bb.14:
	v_mov_b32_e32 v16, v2
	v_mov_b32_e32 v17, v0
	s_mov_b32 s2, 0x3f10624e
	v_pk_add_f32 v[16:17], v[16:17], v[10:11] op_sel_hi:[1,0] neg_lo:[0,1] neg_hi:[0,1]
	s_mov_b32 s3, 0x3f36872b
	v_pk_fma_f32 v[16:17], v[16:17], s[2:3], 0.5 op_sel_hi:[1,1,0]
	s_nop 0
	v_cmp_nlt_f32_e64 s[2:3], 1.0, v17
	s_nop 1
	v_cndmask_b32_e64 v0, 1.0, v17, s[2:3]
	v_cmp_nlt_f32_e64 s[2:3], 1.0, v16
	v_mul_f32_e32 v0, 0x437f0000, v0
	v_cvt_u32_f32_e32 v0, v0
	v_cndmask_b32_e64 v2, 1.0, v16, s[2:3]
	v_mul_f32_e32 v2, 0x437f0000, v2
	v_cvt_u32_f32_sdwa v2, v2 dst_sel:WORD_1 dst_unused:UNUSED_PAD src0_sel:DWORD
	v_cmp_ngt_f32_e64 s[2:3], 0, v16
	v_lshlrev_b32_e32 v0, 8, v0
	s_nop 0
	v_cndmask_b32_e64 v2, 0, v2, s[2:3]
	v_cmp_ngt_f32_e64 s[2:3], 0, v17
	s_nop 1
	v_cndmask_b32_e64 v0, 0, v0, s[2:3]
	v_or3_b32 v0, v2, v0, v1
	v_and_b32_sdwa v1, v0, s6 dst_sel:DWORD dst_unused:UNUSED_PAD src0_sel:WORD_1 src1_sel:DWORD
	v_lshrrev_b32_e32 v0, 8, v0
	v_sub_u32_sdwa v0, v9, v0 dst_sel:DWORD dst_unused:UNUSED_PAD src0_sel:BYTE_1 src1_sel:BYTE_0
	v_sub_u32_e32 v2, 0, v0
	v_max_i32_e32 v0, v0, v2
	v_cmp_gt_u32_e64 s[2:3], 8, v0
	v_sub_u32_sdwa v0, v9, v1 dst_sel:DWORD dst_unused:UNUSED_PAD src0_sel:BYTE_2 src1_sel:DWORD
	v_sub_u32_e32 v1, 0, v0
	v_max_i32_e32 v0, v0, v1
	v_cmp_gt_u32_e64 s[6:7], 7, v0
	s_and_b64 s[2:3], s[2:3], s[6:7]
	v_cndmask_b32_e64 v14, 0, 8, s[2:3]
.LBB0_15:
	s_or_b64 exec, exec, s[14:15]
.LBB0_16:
	s_or_b64 exec, exec, s[12:13]
	s_add_i32 s2, s11, -1
	v_cmp_gt_i32_e64 s[2:3], s2, v12
	s_and_b64 s[4:5], s[2:3], s[4:5]
	v_add_u32_e32 v19, 1, v12
	v_mov_b32_e32 v16, 0
	v_mov_b32_e32 v17, 0
	s_and_saveexec_b64 s[12:13], s[4:5]
	s_cbranch_execz .LBB0_20
; %bb.17:
	v_cndmask_b32_e64 v1, v12, v19, s[4:5]
	v_cndmask_b32_e64 v0, v6, v18, s[4:5]
	v_mad_u64_u32 v[0:1], s[4:5], v1, s10, v[0:1]
	v_mad_i64_i32 v[0:1], s[4:5], v0, 12, s[8:9]
	global_load_dwordx3 v[0:2], v[0:1], off
	s_mov_b32 s4, 0x3f1645a2
	s_mov_b32 s5, 0x3de978d5
	s_movk_i32 s6, 0xff
	v_mov_b32_e32 v17, 0
	s_waitcnt vmcnt(0)
	v_mov_b32_e32 v20, v1
	v_mov_b32_e32 v21, v2
	v_pk_mul_f32 v[20:21], v[20:21], s[4:5]
	s_nop 0
	v_fmamk_f32 v1, v0, 0x3e991687, v20
	v_add_f32_e32 v10, v21, v1
	v_cmp_nlt_f32_e64 s[4:5], 1.0, v10
	s_nop 1
	v_cndmask_b32_e64 v1, 1.0, v10, s[4:5]
	v_mul_f32_e32 v1, 0x437f0000, v1
	v_cmp_ngt_f32_e64 s[4:5], 0, v10
	s_nop 1
	v_cndmask_b32_e64 v1, 0, v1, s[4:5]
	v_cvt_u32_f32_e32 v1, v1
	v_sub_u32_sdwa v18, v8, v1 dst_sel:DWORD dst_unused:UNUSED_PAD src0_sel:BYTE_0 src1_sel:BYTE_0
	v_sub_u32_e32 v20, 0, v18
	v_max_i32_e32 v18, v18, v20
	v_cmp_gt_u32_e64 s[4:5], 49, v18
	s_and_saveexec_b64 s[14:15], s[4:5]
	s_cbranch_execz .LBB0_19
; %bb.18:
	v_mov_b32_e32 v20, v2
	v_mov_b32_e32 v21, v0
	s_mov_b32 s4, 0x3f10624e
	v_pk_add_f32 v[20:21], v[20:21], v[10:11] op_sel_hi:[1,0] neg_lo:[0,1] neg_hi:[0,1]
	s_mov_b32 s5, 0x3f36872b
	v_pk_fma_f32 v[20:21], v[20:21], s[4:5], 0.5 op_sel_hi:[1,1,0]
	s_nop 0
	v_cmp_nlt_f32_e64 s[4:5], 1.0, v21
	s_nop 1
	v_cndmask_b32_e64 v0, 1.0, v21, s[4:5]
	v_cmp_nlt_f32_e64 s[4:5], 1.0, v20
	v_mul_f32_e32 v0, 0x437f0000, v0
	v_cvt_u32_f32_e32 v0, v0
	v_cndmask_b32_e64 v2, 1.0, v20, s[4:5]
	v_mul_f32_e32 v2, 0x437f0000, v2
	v_cvt_u32_f32_sdwa v2, v2 dst_sel:WORD_1 dst_unused:UNUSED_PAD src0_sel:DWORD
	v_cmp_ngt_f32_e64 s[4:5], 0, v20
	v_lshlrev_b32_e32 v0, 8, v0
	s_nop 0
	v_cndmask_b32_e64 v2, 0, v2, s[4:5]
	v_cmp_ngt_f32_e64 s[4:5], 0, v21
	s_nop 1
	v_cndmask_b32_e64 v0, 0, v0, s[4:5]
	v_or3_b32 v0, v2, v0, v1
	v_and_b32_sdwa v1, v0, s6 dst_sel:DWORD dst_unused:UNUSED_PAD src0_sel:WORD_1 src1_sel:DWORD
	v_lshrrev_b32_e32 v0, 8, v0
	v_sub_u32_sdwa v0, v9, v0 dst_sel:DWORD dst_unused:UNUSED_PAD src0_sel:BYTE_1 src1_sel:BYTE_0
	v_sub_u32_e32 v2, 0, v0
	v_max_i32_e32 v0, v0, v2
	v_cmp_gt_u32_e64 s[4:5], 8, v0
	v_sub_u32_sdwa v0, v9, v1 dst_sel:DWORD dst_unused:UNUSED_PAD src0_sel:BYTE_2 src1_sel:DWORD
	v_sub_u32_e32 v1, 0, v0
	v_max_i32_e32 v0, v0, v1
	v_cmp_gt_u32_e64 s[6:7], 7, v0
	s_and_b64 s[4:5], s[4:5], s[6:7]
	v_cndmask_b32_e64 v17, 0, 16, s[4:5]
.LBB0_19:
	s_or_b64 exec, exec, s[14:15]
.LBB0_20:
	s_or_b64 exec, exec, s[12:13]
	s_and_saveexec_b64 s[12:13], s[2:3]
	s_cbranch_execz .LBB0_24
; %bb.21:
	v_cndmask_b32_e64 v0, v12, v19, s[2:3]
	v_mad_u64_u32 v[0:1], s[4:5], v0, s10, v[6:7]
	v_mad_i64_i32 v[0:1], s[4:5], v0, 12, s[8:9]
	global_load_dwordx3 v[0:2], v[0:1], off
	s_mov_b32 s4, 0x3f1645a2
	s_mov_b32 s5, 0x3de978d5
	s_movk_i32 s6, 0xff
	v_mov_b32_e32 v16, 0
	s_waitcnt vmcnt(0)
	v_mov_b32_e32 v20, v1
	v_mov_b32_e32 v21, v2
	v_pk_mul_f32 v[20:21], v[20:21], s[4:5]
	s_nop 0
	v_fmamk_f32 v1, v0, 0x3e991687, v20
	v_add_f32_e32 v10, v21, v1
	v_cmp_nlt_f32_e64 s[4:5], 1.0, v10
	s_nop 1
	v_cndmask_b32_e64 v1, 1.0, v10, s[4:5]
	v_mul_f32_e32 v1, 0x437f0000, v1
	v_cmp_ngt_f32_e64 s[4:5], 0, v10
	s_nop 1
	v_cndmask_b32_e64 v1, 0, v1, s[4:5]
	v_cvt_u32_f32_e32 v1, v1
	v_sub_u32_sdwa v18, v8, v1 dst_sel:DWORD dst_unused:UNUSED_PAD src0_sel:BYTE_0 src1_sel:BYTE_0
	v_sub_u32_e32 v20, 0, v18
	v_max_i32_e32 v18, v18, v20
	v_cmp_gt_u32_e64 s[4:5], 49, v18
	s_and_saveexec_b64 s[14:15], s[4:5]
	s_cbranch_execz .LBB0_23
; %bb.22:
	v_mov_b32_e32 v20, v2
	v_mov_b32_e32 v21, v0
	s_mov_b32 s4, 0x3f10624e
	v_pk_add_f32 v[20:21], v[20:21], v[10:11] op_sel_hi:[1,0] neg_lo:[0,1] neg_hi:[0,1]
	s_mov_b32 s5, 0x3f36872b
	v_pk_fma_f32 v[20:21], v[20:21], s[4:5], 0.5 op_sel_hi:[1,1,0]
	s_nop 0
	v_cmp_nlt_f32_e64 s[4:5], 1.0, v21
	s_nop 1
	v_cndmask_b32_e64 v0, 1.0, v21, s[4:5]
	v_cmp_nlt_f32_e64 s[4:5], 1.0, v20
	v_mul_f32_e32 v0, 0x437f0000, v0
	v_cvt_u32_f32_e32 v0, v0
	v_cndmask_b32_e64 v2, 1.0, v20, s[4:5]
	v_mul_f32_e32 v2, 0x437f0000, v2
	v_cvt_u32_f32_sdwa v2, v2 dst_sel:WORD_1 dst_unused:UNUSED_PAD src0_sel:DWORD
	v_cmp_ngt_f32_e64 s[4:5], 0, v20
	v_lshlrev_b32_e32 v0, 8, v0
	s_nop 0
	v_cndmask_b32_e64 v2, 0, v2, s[4:5]
	v_cmp_ngt_f32_e64 s[4:5], 0, v21
	s_nop 1
	v_cndmask_b32_e64 v0, 0, v0, s[4:5]
	v_or3_b32 v0, v2, v0, v1
	v_and_b32_sdwa v1, v0, s6 dst_sel:DWORD dst_unused:UNUSED_PAD src0_sel:WORD_1 src1_sel:DWORD
	v_lshrrev_b32_e32 v0, 8, v0
	v_sub_u32_sdwa v0, v9, v0 dst_sel:DWORD dst_unused:UNUSED_PAD src0_sel:BYTE_1 src1_sel:BYTE_0
	v_sub_u32_e32 v2, 0, v0
	v_max_i32_e32 v0, v0, v2
	v_cmp_gt_u32_e64 s[4:5], 8, v0
	v_sub_u32_sdwa v0, v9, v1 dst_sel:DWORD dst_unused:UNUSED_PAD src0_sel:BYTE_2 src1_sel:DWORD
	v_sub_u32_e32 v1, 0, v0
	v_max_i32_e32 v0, v0, v1
	v_cmp_gt_u32_e64 s[6:7], 7, v0
	s_and_b64 s[4:5], s[4:5], s[6:7]
	v_cndmask_b32_e64 v16, 0, 32, s[4:5]
.LBB0_23:
	s_or_b64 exec, exec, s[14:15]
.LBB0_24:
	s_or_b64 exec, exec, s[12:13]
	s_load_dwordx2 s[4:5], s[0:1], 0x8
	s_and_b64 s[0:1], s[2:3], vcc
	v_mov_b32_e32 v18, 0
	v_mov_b32_e32 v20, 0
	s_and_saveexec_b64 s[6:7], s[0:1]
	s_cbranch_execz .LBB0_28
; %bb.25:
	v_cndmask_b32_e64 v1, v12, v19, s[0:1]
	v_cndmask_b32_e64 v0, v6, v7, s[0:1]
	v_mad_u64_u32 v[0:1], s[0:1], v1, s10, v[0:1]
	v_mad_i64_i32 v[0:1], s[0:1], v0, 12, s[8:9]
	global_load_dwordx3 v[0:2], v[0:1], off
	s_mov_b32 s0, 0x3f1645a2
	s_mov_b32 s1, 0x3de978d5
	s_movk_i32 s2, 0xff
	s_waitcnt vmcnt(0)
	v_mov_b32_e32 v20, v1
	v_mov_b32_e32 v21, v2
	v_pk_mul_f32 v[20:21], v[20:21], s[0:1]
	s_nop 0
	v_fmamk_f32 v1, v0, 0x3e991687, v20
	v_add_f32_e32 v10, v21, v1
	v_cmp_nlt_f32_e64 s[0:1], 1.0, v10
	v_mov_b32_e32 v20, 0
	s_nop 0
	v_cndmask_b32_e64 v1, 1.0, v10, s[0:1]
	v_mul_f32_e32 v1, 0x437f0000, v1
	v_cmp_ngt_f32_e64 s[0:1], 0, v10
	s_nop 1
	v_cndmask_b32_e64 v1, 0, v1, s[0:1]
	v_cvt_u32_f32_e32 v1, v1
	v_sub_u32_sdwa v12, v8, v1 dst_sel:DWORD dst_unused:UNUSED_PAD src0_sel:BYTE_0 src1_sel:BYTE_0
	v_sub_u32_e32 v19, 0, v12
	v_max_i32_e32 v12, v12, v19
	v_cmp_gt_u32_e64 s[0:1], 49, v12
	s_and_saveexec_b64 s[10:11], s[0:1]
	s_cbranch_execz .LBB0_27
; %bb.26:
	v_mov_b32_e32 v20, v2
	v_mov_b32_e32 v21, v0
	s_mov_b32 s0, 0x3f10624e
	v_pk_add_f32 v[20:21], v[20:21], v[10:11] op_sel_hi:[1,0] neg_lo:[0,1] neg_hi:[0,1]
	s_mov_b32 s1, 0x3f36872b
	v_pk_fma_f32 v[20:21], v[20:21], s[0:1], 0.5 op_sel_hi:[1,1,0]
	s_nop 0
	v_cmp_nlt_f32_e64 s[0:1], 1.0, v21
	s_nop 1
	v_cndmask_b32_e64 v0, 1.0, v21, s[0:1]
	v_cmp_nlt_f32_e64 s[0:1], 1.0, v20
	v_mul_f32_e32 v0, 0x437f0000, v0
	v_cvt_u32_f32_e32 v0, v0
	v_cndmask_b32_e64 v2, 1.0, v20, s[0:1]
	v_mul_f32_e32 v2, 0x437f0000, v2
	v_cvt_u32_f32_sdwa v2, v2 dst_sel:WORD_1 dst_unused:UNUSED_PAD src0_sel:DWORD
	v_cmp_ngt_f32_e64 s[0:1], 0, v20
	v_lshlrev_b32_e32 v0, 8, v0
	s_nop 0
	v_cndmask_b32_e64 v2, 0, v2, s[0:1]
	v_cmp_ngt_f32_e64 s[0:1], 0, v21
	s_nop 1
	v_cndmask_b32_e64 v0, 0, v0, s[0:1]
	v_or3_b32 v0, v2, v0, v1
	v_and_b32_sdwa v1, v0, s2 dst_sel:DWORD dst_unused:UNUSED_PAD src0_sel:WORD_1 src1_sel:DWORD
	v_lshrrev_b32_e32 v0, 8, v0
	v_sub_u32_sdwa v0, v9, v0 dst_sel:DWORD dst_unused:UNUSED_PAD src0_sel:BYTE_1 src1_sel:BYTE_0
	v_sub_u32_e32 v2, 0, v0
	v_max_i32_e32 v0, v0, v2
	v_cmp_gt_u32_e64 s[0:1], 8, v0
	v_sub_u32_sdwa v0, v9, v1 dst_sel:DWORD dst_unused:UNUSED_PAD src0_sel:BYTE_2 src1_sel:DWORD
	v_sub_u32_e32 v1, 0, v0
	v_max_i32_e32 v0, v0, v1
	v_cmp_gt_u32_e64 s[2:3], 7, v0
	s_and_b64 s[0:1], s[0:1], s[2:3]
	v_cndmask_b32_e64 v20, 0, 64, s[0:1]
.LBB0_27:
	s_or_b64 exec, exec, s[10:11]
.LBB0_28:
	s_or_b64 exec, exec, s[6:7]
	s_and_saveexec_b64 s[2:3], vcc
	s_cbranch_execz .LBB0_32
; %bb.29:
	v_cndmask_b32_e32 v0, v6, v7, vcc
	v_add_u32_e32 v0, v0, v3
	v_mad_i64_i32 v[0:1], s[0:1], v0, 12, s[8:9]
	global_load_dwordx3 v[0:2], v[0:1], off
	s_mov_b32 s0, 0x3f1645a2
	s_mov_b32 s1, 0x3de978d5
	v_mov_b32_e32 v18, 0
	s_waitcnt vmcnt(0)
	v_mov_b32_e32 v6, v1
	v_mov_b32_e32 v7, v2
	v_pk_mul_f32 v[6:7], v[6:7], s[0:1]
	s_movk_i32 s0, 0xff
	v_fmamk_f32 v1, v0, 0x3e991687, v6
	v_add_f32_e32 v6, v7, v1
	v_cmp_nlt_f32_e32 vcc, 1.0, v6
	s_nop 1
	v_cndmask_b32_e32 v1, 1.0, v6, vcc
	v_mul_f32_e32 v1, 0x437f0000, v1
	v_cmp_ngt_f32_e32 vcc, 0, v6
	s_nop 1
	v_cndmask_b32_e32 v1, 0, v1, vcc
	v_cvt_u32_f32_e32 v1, v1
	v_sub_u32_sdwa v3, v8, v1 dst_sel:DWORD dst_unused:UNUSED_PAD src0_sel:BYTE_0 src1_sel:BYTE_0
	v_sub_u32_e32 v7, 0, v3
	v_max_i32_e32 v3, v3, v7
	v_cmp_gt_u32_e32 vcc, 49, v3
	s_and_saveexec_b64 s[6:7], vcc
	s_cbranch_execz .LBB0_31
; %bb.30:
	v_mov_b32_e32 v3, v0
	s_mov_b32 s8, 0x3f10624e
	v_pk_add_f32 v[2:3], v[2:3], v[6:7] op_sel_hi:[1,0] neg_lo:[0,1] neg_hi:[0,1]
	s_mov_b32 s9, 0x3f36872b
	v_pk_fma_f32 v[2:3], v[2:3], s[8:9], 0.5 op_sel_hi:[1,1,0]
	s_nop 0
	v_cmp_nlt_f32_e32 vcc, 1.0, v3
	s_nop 1
	v_cndmask_b32_e32 v0, 1.0, v3, vcc
	v_cmp_nlt_f32_e32 vcc, 1.0, v2
	v_mul_f32_e32 v0, 0x437f0000, v0
	v_cvt_u32_f32_e32 v0, v0
	v_cndmask_b32_e32 v6, 1.0, v2, vcc
	v_mul_f32_e32 v6, 0x437f0000, v6
	v_cvt_u32_f32_sdwa v6, v6 dst_sel:WORD_1 dst_unused:UNUSED_PAD src0_sel:DWORD
	v_cmp_ngt_f32_e32 vcc, 0, v2
	v_lshlrev_b32_e32 v0, 8, v0
	s_nop 0
	v_cndmask_b32_e32 v2, 0, v6, vcc
	v_cmp_ngt_f32_e32 vcc, 0, v3
	s_nop 1
	v_cndmask_b32_e32 v0, 0, v0, vcc
	v_or3_b32 v0, v2, v0, v1
	v_and_b32_sdwa v1, v0, s0 dst_sel:DWORD dst_unused:UNUSED_PAD src0_sel:WORD_1 src1_sel:DWORD
	v_lshrrev_b32_e32 v0, 8, v0
	v_sub_u32_sdwa v0, v9, v0 dst_sel:DWORD dst_unused:UNUSED_PAD src0_sel:BYTE_1 src1_sel:BYTE_0
	v_sub_u32_e32 v2, 0, v0
	v_max_i32_e32 v0, v0, v2
	v_cmp_gt_u32_e32 vcc, 8, v0
	v_sub_u32_sdwa v0, v9, v1 dst_sel:DWORD dst_unused:UNUSED_PAD src0_sel:BYTE_2 src1_sel:DWORD
	v_sub_u32_e32 v1, 0, v0
	v_max_i32_e32 v0, v0, v1
	v_cmp_gt_u32_e64 s[0:1], 7, v0
	v_mov_b32_e32 v0, 0x80
	s_and_b64 vcc, vcc, s[0:1]
	v_cndmask_b32_e32 v18, 0, v0, vcc
.LBB0_31:
	s_or_b64 exec, exec, s[6:7]
.LBB0_32:
	s_or_b64 exec, exec, s[2:3]
	v_lshl_or_b32 v0, v9, 8, v11
	v_or3_b32 v0, v0, v13, v15
	v_or3_b32 v0, v0, v14, v17
	v_add_u32_e32 v0, v0, v16
	v_add3_u32 v2, v0, v20, v18
	s_waitcnt lgkmcnt(0)
	v_lshl_add_u64 v[0:1], v[4:5], 2, s[4:5]
	global_store_dword v[0:1], v2, off
	s_endpgm
	.section	.rodata,"a",@progbits
	.p2align	6, 0x0
	.amdhsa_kernel _Z13check_connectPK15HIP_vector_typeIfLj3EEPjii
		.amdhsa_group_segment_fixed_size 0
		.amdhsa_private_segment_fixed_size 0
		.amdhsa_kernarg_size 280
		.amdhsa_user_sgpr_count 2
		.amdhsa_user_sgpr_dispatch_ptr 0
		.amdhsa_user_sgpr_queue_ptr 0
		.amdhsa_user_sgpr_kernarg_segment_ptr 1
		.amdhsa_user_sgpr_dispatch_id 0
		.amdhsa_user_sgpr_kernarg_preload_length 0
		.amdhsa_user_sgpr_kernarg_preload_offset 0
		.amdhsa_user_sgpr_private_segment_size 0
		.amdhsa_uses_dynamic_stack 0
		.amdhsa_enable_private_segment 0
		.amdhsa_system_sgpr_workgroup_id_x 1
		.amdhsa_system_sgpr_workgroup_id_y 0
		.amdhsa_system_sgpr_workgroup_id_z 0
		.amdhsa_system_sgpr_workgroup_info 0
		.amdhsa_system_vgpr_workitem_id 0
		.amdhsa_next_free_vgpr 22
		.amdhsa_next_free_sgpr 22
		.amdhsa_accum_offset 24
		.amdhsa_reserve_vcc 1
		.amdhsa_float_round_mode_32 0
		.amdhsa_float_round_mode_16_64 0
		.amdhsa_float_denorm_mode_32 3
		.amdhsa_float_denorm_mode_16_64 3
		.amdhsa_dx10_clamp 1
		.amdhsa_ieee_mode 1
		.amdhsa_fp16_overflow 0
		.amdhsa_tg_split 0
		.amdhsa_exception_fp_ieee_invalid_op 0
		.amdhsa_exception_fp_denorm_src 0
		.amdhsa_exception_fp_ieee_div_zero 0
		.amdhsa_exception_fp_ieee_overflow 0
		.amdhsa_exception_fp_ieee_underflow 0
		.amdhsa_exception_fp_ieee_inexact 0
		.amdhsa_exception_int_div_zero 0
	.end_amdhsa_kernel
	.text
.Lfunc_end0:
	.size	_Z13check_connectPK15HIP_vector_typeIfLj3EEPjii, .Lfunc_end0-_Z13check_connectPK15HIP_vector_typeIfLj3EEPjii
                                        ; -- End function
	.set _Z13check_connectPK15HIP_vector_typeIfLj3EEPjii.num_vgpr, 22
	.set _Z13check_connectPK15HIP_vector_typeIfLj3EEPjii.num_agpr, 0
	.set _Z13check_connectPK15HIP_vector_typeIfLj3EEPjii.numbered_sgpr, 22
	.set _Z13check_connectPK15HIP_vector_typeIfLj3EEPjii.num_named_barrier, 0
	.set _Z13check_connectPK15HIP_vector_typeIfLj3EEPjii.private_seg_size, 0
	.set _Z13check_connectPK15HIP_vector_typeIfLj3EEPjii.uses_vcc, 1
	.set _Z13check_connectPK15HIP_vector_typeIfLj3EEPjii.uses_flat_scratch, 0
	.set _Z13check_connectPK15HIP_vector_typeIfLj3EEPjii.has_dyn_sized_stack, 0
	.set _Z13check_connectPK15HIP_vector_typeIfLj3EEPjii.has_recursion, 0
	.set _Z13check_connectPK15HIP_vector_typeIfLj3EEPjii.has_indirect_call, 0
	.section	.AMDGPU.csdata,"",@progbits
; Kernel info:
; codeLenInByte = 3916
; TotalNumSgprs: 28
; NumVgprs: 22
; NumAgprs: 0
; TotalNumVgprs: 22
; ScratchSize: 0
; MemoryBound: 0
; FloatMode: 240
; IeeeMode: 1
; LDSByteSize: 0 bytes/workgroup (compile time only)
; SGPRBlocks: 3
; VGPRBlocks: 2
; NumSGPRsForWavesPerEU: 28
; NumVGPRsForWavesPerEU: 22
; AccumOffset: 24
; Occupancy: 8
; WaveLimiterHint : 0
; COMPUTE_PGM_RSRC2:SCRATCH_EN: 0
; COMPUTE_PGM_RSRC2:USER_SGPR: 2
; COMPUTE_PGM_RSRC2:TRAP_HANDLER: 0
; COMPUTE_PGM_RSRC2:TGID_X_EN: 1
; COMPUTE_PGM_RSRC2:TGID_Y_EN: 0
; COMPUTE_PGM_RSRC2:TGID_Z_EN: 0
; COMPUTE_PGM_RSRC2:TIDIG_COMP_CNT: 0
; COMPUTE_PGM_RSRC3_GFX90A:ACCUM_OFFSET: 5
; COMPUTE_PGM_RSRC3_GFX90A:TG_SPLIT: 0
	.text
	.protected	_Z17eliminate_crossesPKjPjii ; -- Begin function _Z17eliminate_crossesPKjPjii
	.globl	_Z17eliminate_crossesPKjPjii
	.p2align	8
	.type	_Z17eliminate_crossesPKjPjii,@function
_Z17eliminate_crossesPKjPjii:           ; @_Z17eliminate_crossesPKjPjii
; %bb.0:
	s_load_dword s3, s[0:1], 0x24
	s_load_dwordx4 s[4:7], s[0:1], 0x0
	s_load_dwordx2 s[10:11], s[0:1], 0x10
	s_and_b32 s1, s2, 0xffffff
	v_mov_b32_e32 v1, 0
	s_waitcnt lgkmcnt(0)
	s_and_b32 s0, s3, 0xffff
	s_mul_i32 s1, s1, s0
	v_add_u32_e32 v0, s1, v0
	v_lshl_add_u64 v[2:3], v[0:1], 2, s[4:5]
	global_load_dword v11, v[2:3], off
	v_cvt_f32_u32_e32 v2, s10
	s_sub_i32 s0, 0, s10
	s_add_i32 s3, s10, -1
	s_add_i32 s2, s11, -1
	v_rcp_iflag_f32_e32 v2, v2
	v_mov_b32_e32 v5, v1
	v_mul_f32_e32 v2, 0x4f7ffffe, v2
	v_cvt_u32_f32_e32 v2, v2
	v_mul_lo_u32 v3, s0, v2
	v_mul_hi_u32 v3, v2, v3
	v_add_u32_e32 v2, v2, v3
	v_mul_hi_u32 v2, v0, v2
	v_mul_lo_u32 v3, v2, s10
	v_sub_u32_e32 v3, v0, v3
	v_add_u32_e32 v4, 1, v2
	v_cmp_le_u32_e32 vcc, s10, v3
	s_nop 1
	v_cndmask_b32_e32 v2, v2, v4, vcc
	v_subrev_u32_e32 v4, s10, v3
	v_cndmask_b32_e32 v3, v3, v4, vcc
	v_add_u32_e32 v4, 1, v2
	v_cmp_le_u32_e32 vcc, s10, v3
	s_nop 1
	v_cndmask_b32_e32 v16, v2, v4, vcc
	v_mul_lo_u32 v3, v16, s10
	v_sub_u32_e32 v2, v0, v3
	v_cmp_gt_i32_e32 vcc, s2, v16
	v_cmp_gt_i32_e64 s[0:1], s3, v2
	s_and_b64 s[12:13], vcc, s[0:1]
	s_mov_b64 s[0:1], -1
                                        ; implicit-def: $vgpr4
	s_and_saveexec_b64 s[8:9], s[12:13]
	s_cbranch_execnz .LBB1_3
; %bb.1:
	s_or_b64 exec, exec, s[8:9]
	s_and_saveexec_b64 s[2:3], s[0:1]
	s_cbranch_execnz .LBB1_224
.LBB1_2:
	s_or_b64 exec, exec, s[2:3]
	v_lshl_add_u64 v[0:1], v[0:1], 2, s[6:7]
	global_store_dword v[0:1], v4, off
	s_endpgm
.LBB1_3:
	v_add_u32_e32 v4, 1, v0
	v_add_u32_e32 v6, s10, v4
	v_mov_b32_e32 v7, v1
	v_mov_b32_e32 v5, v1
	v_lshl_add_u64 v[6:7], v[6:7], 2, s[4:5]
	v_lshl_add_u64 v[4:5], v[4:5], 2, s[4:5]
	global_load_dword v6, v[6:7], off
	s_nop 0
	global_load_dword v12, v[4:5], off
	s_waitcnt vmcnt(2)
	v_lshrrev_b32_e32 v4, 3, v11
	v_lshrrev_b32_e32 v5, 2, v11
	;; [unrolled: 1-line block ×3, first 2 shown]
	v_and_b32_e32 v5, 8, v5
	s_waitcnt vmcnt(1)
	v_and_b32_e32 v8, 2, v6
	v_lshrrev_b32_e32 v6, 5, v6
	s_waitcnt vmcnt(0)
	v_lshrrev_b32_e32 v9, 6, v12
	v_and_or_b32 v4, v4, 1, v8
	v_and_b32_e32 v6, 4, v6
	v_and_b32_e32 v7, v7, v9
	v_or3_b32 v13, v4, v5, v6
	v_and_b32_e32 v4, 1, v7
	v_cmp_eq_u32_e32 vcc, 1, v4
                                        ; implicit-def: $vgpr4
	s_and_saveexec_b64 s[12:13], vcc
	s_cbranch_execz .LBB1_221
; %bb.4:
	v_and_b32_e32 v4, 40, v11
	v_cmp_ne_u32_e32 vcc, 0, v4
	v_and_b32_e32 v4, 0xa0, v12
	v_cmp_ne_u32_e64 s[0:1], 0, v4
	s_and_b64 s[0:1], vcc, s[0:1]
                                        ; implicit-def: $vgpr4
	s_and_saveexec_b64 s[14:15], s[0:1]
	s_xor_b64 s[0:1], exec, s[14:15]
; %bb.5:
	s_movk_i32 s14, 0xff00
	v_and_or_b32 v4, v11, s14, v13
                                        ; implicit-def: $vgpr2
                                        ; implicit-def: $vgpr16
                                        ; implicit-def: $vgpr3
; %bb.6:
	s_or_saveexec_b64 s[14:15], s[0:1]
	s_mov_b64 s[0:1], 0
	s_xor_b64 exec, exec, s[14:15]
	s_cbranch_execz .LBB1_220
; %bb.7:
	v_max_i32_e32 v4, 3, v16
	s_add_i32 s0, s10, -4
	v_add_u32_e32 v8, -3, v4
	v_add_u32_e32 v4, 4, v16
	v_mov_b32_e32 v5, s3
	v_cmp_gt_i32_e32 vcc, s0, v16
	v_mov_b32_e32 v14, 0
	v_mov_b32_e32 v15, 0
	v_cndmask_b32_e32 v9, v5, v4, vcc
	v_cmp_le_i32_e32 vcc, v8, v9
	s_and_saveexec_b64 s[16:17], vcc
	s_cbranch_execz .LBB1_21
; %bb.8:
	s_add_i32 s0, s11, -4
	v_max_i32_e32 v5, 3, v2
	v_add_u32_e32 v6, 4, v2
	v_mov_b32_e32 v7, s2
	v_cmp_gt_i32_e32 vcc, s0, v2
	v_add_u32_e32 v4, -3, v5
	v_add_u32_e32 v17, -4, v5
	v_cndmask_b32_e32 v10, v7, v6, vcc
	v_mul_lo_u32 v6, s10, v8
	v_cmp_le_i32_e32 vcc, v4, v10
	v_add_u32_e32 v4, v4, v6
	v_sub_u32_e32 v6, v0, v6
	v_sub_u32_e32 v5, v6, v5
	v_add_u32_e32 v18, 4, v5
	v_mov_b32_e32 v14, 0
	s_mov_b64 s[18:19], 0
	v_mov_b32_e32 v15, 0
	s_branch .LBB1_11
.LBB1_9:                                ;   in Loop: Header=BB1_11 Depth=1
	s_or_b64 exec, exec, s[22:23]
.LBB1_10:                               ;   in Loop: Header=BB1_11 Depth=1
	s_or_b64 exec, exec, s[20:21]
	v_add_u32_e32 v5, 1, v8
	v_cmp_ge_i32_e64 s[0:1], v8, v9
	v_add_u32_e32 v4, s10, v4
	v_subrev_u32_e32 v18, s10, v18
	s_or_b64 s[18:19], s[0:1], s[18:19]
	v_mov_b32_e32 v8, v5
	s_andn2_b64 exec, exec, s[18:19]
	s_cbranch_execz .LBB1_20
.LBB1_11:                               ; =>This Loop Header: Depth=1
                                        ;     Child Loop BB1_15 Depth 2
	s_and_saveexec_b64 s[20:21], vcc
	s_cbranch_execz .LBB1_10
; %bb.12:                               ;   in Loop: Header=BB1_11 Depth=1
	v_ashrrev_i32_e32 v5, 31, v4
	v_lshl_add_u64 v[6:7], v[4:5], 2, s[4:5]
	s_mov_b64 s[22:23], 0
	v_mov_b32_e32 v5, v18
	v_mov_b32_e32 v19, v17
	s_branch .LBB1_15
.LBB1_13:                               ;   in Loop: Header=BB1_15 Depth=2
	s_or_b64 exec, exec, s[26:27]
	v_add_u32_e32 v15, v22, v15
	v_add_u32_e32 v14, v21, v14
.LBB1_14:                               ;   in Loop: Header=BB1_15 Depth=2
	s_or_b64 exec, exec, s[24:25]
	v_add_u32_e32 v19, 1, v19
	v_cmp_ge_i32_e64 s[0:1], v19, v10
	s_or_b64 s[22:23], s[0:1], s[22:23]
	v_lshl_add_u64 v[6:7], v[6:7], 0, 4
	s_andn2_b64 exec, exec, s[22:23]
	s_cbranch_execz .LBB1_9
.LBB1_15:                               ;   Parent Loop BB1_11 Depth=1
                                        ; =>  This Inner Loop Header: Depth=2
	v_cmp_ne_u32_e64 s[0:1], 1, v5
	v_subrev_co_u32_e64 v5, s[2:3], 1, v5
	s_xor_b64 s[2:3], s[2:3], -1
	s_and_b64 s[0:1], s[0:1], s[2:3]
	s_and_saveexec_b64 s[24:25], s[0:1]
	s_cbranch_execz .LBB1_14
; %bb.16:                               ;   in Loop: Header=BB1_15 Depth=2
	global_load_dword v20, v[6:7], off
	v_mov_b32_e32 v21, 0
	s_waitcnt vmcnt(0)
	v_sub_u32_sdwa v22, v11, v20 dst_sel:DWORD dst_unused:UNUSED_PAD src0_sel:BYTE_1 src1_sel:BYTE_1
	v_sub_u32_e32 v23, 0, v22
	v_max_i32_e32 v22, v22, v23
	v_cmp_gt_u32_e64 s[0:1], 49, v22
	v_mov_b32_e32 v22, 0
	s_and_saveexec_b64 s[26:27], s[0:1]
	s_cbranch_execz .LBB1_18
; %bb.17:                               ;   in Loop: Header=BB1_15 Depth=2
	v_sub_u32_sdwa v22, v11, v20 dst_sel:DWORD dst_unused:UNUSED_PAD src0_sel:BYTE_2 src1_sel:BYTE_2
	v_sub_u32_e32 v23, 0, v22
	v_max_i32_e32 v22, v22, v23
	v_cmp_gt_u32_e64 s[0:1], 8, v22
	v_sub_u32_sdwa v22, v11, v20 dst_sel:DWORD dst_unused:UNUSED_PAD src0_sel:BYTE_3 src1_sel:BYTE_3
	v_sub_u32_e32 v23, 0, v22
	v_max_i32_e32 v22, v22, v23
	v_cmp_gt_u32_e64 s[2:3], 7, v22
	s_and_b64 s[0:1], s[0:1], s[2:3]
	v_cndmask_b32_e64 v22, 0, 1, s[0:1]
.LBB1_18:                               ;   in Loop: Header=BB1_15 Depth=2
	s_or_b64 exec, exec, s[26:27]
	v_sub_u32_sdwa v23, v12, v20 dst_sel:DWORD dst_unused:UNUSED_PAD src0_sel:BYTE_1 src1_sel:BYTE_1
	v_sub_u32_e32 v24, 0, v23
	v_max_i32_e32 v23, v23, v24
	v_cmp_gt_u32_e64 s[0:1], 49, v23
	s_and_saveexec_b64 s[26:27], s[0:1]
	s_cbranch_execz .LBB1_13
; %bb.19:                               ;   in Loop: Header=BB1_15 Depth=2
	v_sub_u32_sdwa v21, v12, v20 dst_sel:DWORD dst_unused:UNUSED_PAD src0_sel:BYTE_2 src1_sel:BYTE_2
	v_sub_u32_e32 v23, 0, v21
	v_max_i32_e32 v21, v21, v23
	v_sub_u32_sdwa v20, v12, v20 dst_sel:DWORD dst_unused:UNUSED_PAD src0_sel:BYTE_3 src1_sel:BYTE_3
	v_cmp_gt_u32_e64 s[0:1], 8, v21
	v_sub_u32_e32 v21, 0, v20
	v_max_i32_e32 v20, v20, v21
	v_cmp_gt_u32_e64 s[2:3], 7, v20
	s_and_b64 s[0:1], s[0:1], s[2:3]
	v_cndmask_b32_e64 v21, 0, 1, s[0:1]
	s_branch .LBB1_13
.LBB1_20:
	s_or_b64 exec, exec, s[18:19]
.LBB1_21:
	s_or_b64 exec, exec, s[16:17]
	v_ashrrev_i32_e32 v5, 31, v0
	v_mov_b32_e32 v4, v0
	v_lshl_add_u64 v[8:9], v[4:5], 2, s[4:5]
	global_load_dword v4, v[8:9], off
	s_mul_i32 s11, s11, s10
	s_cmp_gt_i32 s11, 1
	s_cselect_b64 s[2:3], -1, 0
	s_mov_b32 s26, 1
	v_mov_b32_e32 v7, 1
	s_waitcnt vmcnt(0)
	v_and_b32_e32 v6, 0xff, v4
	v_bcnt_u32_b32 v4, v6, 0
	v_cmp_eq_u32_e32 vcc, 2, v4
	s_and_b64 s[16:17], vcc, s[2:3]
	s_and_saveexec_b64 s[0:1], s[16:17]
	s_cbranch_execz .LBB1_69
; %bb.22:
	v_mov_b32_e32 v10, 16
	s_mov_b64 s[16:17], 0
	s_movk_i32 s27, 0x7f
	s_movk_i32 s28, 0x80
	v_mov_b32_e32 v4, v2
	v_mov_b32_e32 v5, v16
	s_branch .LBB1_27
.LBB1_23:                               ;   in Loop: Header=BB1_27 Depth=1
	s_or_b64 exec, exec, s[24:25]
.LBB1_24:                               ;   in Loop: Header=BB1_27 Depth=1
	s_or_b64 exec, exec, s[22:23]
.LBB1_25:                               ;   in Loop: Header=BB1_27 Depth=1
	s_or_b64 exec, exec, s[20:21]
.LBB1_26:                               ;   in Loop: Header=BB1_27 Depth=1
	s_or_b64 exec, exec, s[18:19]
	v_mad_u64_u32 v[18:19], s[18:19], v5, s10, v[4:5]
	v_ashrrev_i32_e32 v19, 31, v18
	v_lshl_add_u64 v[18:19], v[18:19], 2, s[4:5]
	global_load_dword v7, v[18:19], off
	v_lshrrev_b32_e32 v10, 4, v6
	v_lshlrev_b32_e32 v17, 4, v6
	s_add_i32 s26, s26, 1
	v_cmp_lt_u32_e32 vcc, 8, v6
	s_cmp_ge_i32 s26, s11
	s_cselect_b64 s[18:19], -1, 0
	v_cndmask_b32_e32 v10, v17, v10, vcc
	s_waitcnt vmcnt(0)
	v_and_b32_e32 v6, 0xff, v7
	v_bcnt_u32_b32 v7, v6, 0
	v_cmp_ne_u32_e32 vcc, 2, v7
	s_or_b64 s[18:19], vcc, s[18:19]
	s_and_b64 s[18:19], exec, s[18:19]
	s_or_b64 s[16:17], s[18:19], s[16:17]
	v_mov_b32_e32 v7, s26
	s_andn2_b64 exec, exec, s[16:17]
	s_cbranch_execz .LBB1_68
.LBB1_27:                               ; =>This Inner Loop Header: Depth=1
	v_sub_u32_e32 v6, v6, v10
	v_cmp_lt_i32_e32 vcc, 15, v6
	s_and_saveexec_b64 s[18:19], vcc
	s_xor_b64 s[18:19], exec, s[18:19]
	s_cbranch_execz .LBB1_49
; %bb.28:                               ;   in Loop: Header=BB1_27 Depth=1
	v_cmp_lt_i32_e32 vcc, 63, v6
	s_and_saveexec_b64 s[20:21], vcc
	s_xor_b64 s[20:21], exec, s[20:21]
	s_cbranch_execz .LBB1_38
; %bb.29:                               ;   in Loop: Header=BB1_27 Depth=1
	;; [unrolled: 5-line block ×3, first 2 shown]
	v_cmp_eq_u32_e32 vcc, s28, v6
	s_and_saveexec_b64 s[24:25], vcc
; %bb.31:                               ;   in Loop: Header=BB1_27 Depth=1
	v_add_u32_e32 v4, -1, v4
; %bb.32:                               ;   in Loop: Header=BB1_27 Depth=1
	s_or_b64 exec, exec, s[24:25]
.LBB1_33:                               ;   in Loop: Header=BB1_27 Depth=1
	s_andn2_saveexec_b64 s[22:23], s[22:23]
	s_cbranch_execz .LBB1_37
; %bb.34:                               ;   in Loop: Header=BB1_27 Depth=1
	v_cmp_eq_u32_e32 vcc, 64, v6
	s_and_saveexec_b64 s[24:25], vcc
; %bb.35:                               ;   in Loop: Header=BB1_27 Depth=1
	v_add_u32_e32 v5, 1, v5
	v_add_u32_e32 v4, -1, v4
; %bb.36:                               ;   in Loop: Header=BB1_27 Depth=1
	s_or_b64 exec, exec, s[24:25]
.LBB1_37:                               ;   in Loop: Header=BB1_27 Depth=1
	s_or_b64 exec, exec, s[22:23]
.LBB1_38:                               ;   in Loop: Header=BB1_27 Depth=1
	s_andn2_saveexec_b64 s[20:21], s[20:21]
	s_cbranch_execz .LBB1_48
; %bb.39:                               ;   in Loop: Header=BB1_27 Depth=1
	v_cmp_lt_i32_e32 vcc, 31, v6
	s_and_saveexec_b64 s[22:23], vcc
	s_xor_b64 s[22:23], exec, s[22:23]
	s_cbranch_execz .LBB1_43
; %bb.40:                               ;   in Loop: Header=BB1_27 Depth=1
	v_cmp_eq_u32_e32 vcc, 32, v6
	s_and_saveexec_b64 s[24:25], vcc
; %bb.41:                               ;   in Loop: Header=BB1_27 Depth=1
	v_add_u32_e32 v5, 1, v5
; %bb.42:                               ;   in Loop: Header=BB1_27 Depth=1
	s_or_b64 exec, exec, s[24:25]
.LBB1_43:                               ;   in Loop: Header=BB1_27 Depth=1
	s_andn2_saveexec_b64 s[22:23], s[22:23]
	s_cbranch_execz .LBB1_47
; %bb.44:                               ;   in Loop: Header=BB1_27 Depth=1
	v_cmp_eq_u32_e32 vcc, 16, v6
	s_and_saveexec_b64 s[24:25], vcc
; %bb.45:                               ;   in Loop: Header=BB1_27 Depth=1
	v_add_u32_e32 v5, 1, v5
	v_add_u32_e32 v4, 1, v4
; %bb.46:                               ;   in Loop: Header=BB1_27 Depth=1
	s_or_b64 exec, exec, s[24:25]
.LBB1_47:                               ;   in Loop: Header=BB1_27 Depth=1
	s_or_b64 exec, exec, s[22:23]
.LBB1_48:                               ;   in Loop: Header=BB1_27 Depth=1
	s_or_b64 exec, exec, s[20:21]
.LBB1_49:                               ;   in Loop: Header=BB1_27 Depth=1
	s_andn2_saveexec_b64 s[18:19], s[18:19]
	s_cbranch_execz .LBB1_26
; %bb.50:                               ;   in Loop: Header=BB1_27 Depth=1
	v_cmp_lt_i32_e32 vcc, 3, v6
	s_and_saveexec_b64 s[20:21], vcc
	s_xor_b64 s[20:21], exec, s[20:21]
	s_cbranch_execz .LBB1_60
; %bb.51:                               ;   in Loop: Header=BB1_27 Depth=1
	v_cmp_lt_i32_e32 vcc, 7, v6
	s_and_saveexec_b64 s[22:23], vcc
	s_xor_b64 s[22:23], exec, s[22:23]
	s_cbranch_execz .LBB1_55
; %bb.52:                               ;   in Loop: Header=BB1_27 Depth=1
	v_cmp_eq_u32_e32 vcc, 8, v6
	s_and_saveexec_b64 s[24:25], vcc
; %bb.53:                               ;   in Loop: Header=BB1_27 Depth=1
	v_add_u32_e32 v4, 1, v4
; %bb.54:                               ;   in Loop: Header=BB1_27 Depth=1
	s_or_b64 exec, exec, s[24:25]
.LBB1_55:                               ;   in Loop: Header=BB1_27 Depth=1
	s_andn2_saveexec_b64 s[22:23], s[22:23]
	s_cbranch_execz .LBB1_59
; %bb.56:                               ;   in Loop: Header=BB1_27 Depth=1
	v_cmp_eq_u32_e32 vcc, 4, v6
	s_and_saveexec_b64 s[24:25], vcc
; %bb.57:                               ;   in Loop: Header=BB1_27 Depth=1
	v_add_u32_e32 v5, -1, v5
	v_add_u32_e32 v4, 1, v4
; %bb.58:                               ;   in Loop: Header=BB1_27 Depth=1
	s_or_b64 exec, exec, s[24:25]
.LBB1_59:                               ;   in Loop: Header=BB1_27 Depth=1
	s_or_b64 exec, exec, s[22:23]
.LBB1_60:                               ;   in Loop: Header=BB1_27 Depth=1
	s_andn2_saveexec_b64 s[20:21], s[20:21]
	s_cbranch_execz .LBB1_25
; %bb.61:                               ;   in Loop: Header=BB1_27 Depth=1
	v_cmp_lt_i32_e32 vcc, 1, v6
	s_and_saveexec_b64 s[22:23], vcc
	s_xor_b64 s[22:23], exec, s[22:23]
	s_cbranch_execz .LBB1_65
; %bb.62:                               ;   in Loop: Header=BB1_27 Depth=1
	v_cmp_eq_u32_e32 vcc, 2, v6
	s_and_saveexec_b64 s[24:25], vcc
; %bb.63:                               ;   in Loop: Header=BB1_27 Depth=1
	v_add_u32_e32 v5, -1, v5
; %bb.64:                               ;   in Loop: Header=BB1_27 Depth=1
	s_or_b64 exec, exec, s[24:25]
.LBB1_65:                               ;   in Loop: Header=BB1_27 Depth=1
	s_andn2_saveexec_b64 s[22:23], s[22:23]
	s_cbranch_execz .LBB1_24
; %bb.66:                               ;   in Loop: Header=BB1_27 Depth=1
	v_cmp_eq_u32_e32 vcc, 1, v6
	s_and_saveexec_b64 s[24:25], vcc
	s_cbranch_execz .LBB1_23
; %bb.67:                               ;   in Loop: Header=BB1_27 Depth=1
	v_add_u32_e32 v5, -1, v5
	v_add_u32_e32 v4, -1, v4
	s_branch .LBB1_23
.LBB1_68:
	s_or_b64 exec, exec, s[16:17]
.LBB1_69:
	s_or_b64 exec, exec, s[0:1]
	v_add_u32_e32 v4, s10, v3
	v_ashrrev_i32_e32 v5, 31, v4
	v_ashrrev_i32_e32 v3, 31, v2
	v_lshl_add_u64 v[18:19], v[4:5], 0, v[2:3]
	v_lshl_add_u64 v[18:19], v[18:19], 2, s[4:5]
	global_load_dword v5, v[18:19], off offset:4
	v_cmp_gt_i32_e64 s[0:1], s11, v7
	v_add_u32_e32 v3, 1, v16
	v_add_u32_e32 v6, 1, v2
	s_waitcnt vmcnt(0)
	v_and_b32_e32 v18, 0xff, v5
	v_bcnt_u32_b32 v5, v18, 0
	v_cmp_eq_u32_e32 vcc, 2, v5
	s_and_b64 s[0:1], vcc, s[0:1]
	s_and_saveexec_b64 s[16:17], s[0:1]
	s_cbranch_execz .LBB1_117
; %bb.70:
	v_mov_b32_e32 v17, 1
	s_mov_b64 s[18:19], 0
	s_movk_i32 s26, 0x7f
	s_movk_i32 s27, 0x80
	v_mov_b32_e32 v10, v6
	v_mov_b32_e32 v5, v3
	s_branch .LBB1_75
.LBB1_71:                               ;   in Loop: Header=BB1_75 Depth=1
	s_or_b64 exec, exec, s[24:25]
.LBB1_72:                               ;   in Loop: Header=BB1_75 Depth=1
	s_or_b64 exec, exec, s[22:23]
.LBB1_73:                               ;   in Loop: Header=BB1_75 Depth=1
	s_or_b64 exec, exec, s[20:21]
.LBB1_74:                               ;   in Loop: Header=BB1_75 Depth=1
	s_or_b64 exec, exec, s[0:1]
	v_mad_u64_u32 v[18:19], s[0:1], v5, s10, v[10:11]
	v_ashrrev_i32_e32 v19, 31, v18
	v_lshl_add_u64 v[18:19], v[18:19], 2, s[4:5]
	global_load_dword v18, v[18:19], off
	v_add_u32_e32 v7, 1, v7
	v_cmp_le_i32_e32 vcc, s11, v7
	v_lshrrev_b32_e32 v19, 4, v17
	v_lshlrev_b32_e32 v20, 4, v17
	s_waitcnt vmcnt(0)
	v_and_b32_e32 v18, 0xff, v18
	v_bcnt_u32_b32 v21, v18, 0
	v_cmp_ne_u32_e64 s[0:1], 2, v21
	s_or_b64 s[0:1], s[0:1], vcc
	s_and_b64 s[0:1], exec, s[0:1]
	v_cmp_lt_u32_e32 vcc, 8, v17
	s_or_b64 s[18:19], s[0:1], s[18:19]
	s_nop 0
	v_cndmask_b32_e32 v17, v20, v19, vcc
	s_andn2_b64 exec, exec, s[18:19]
	s_cbranch_execz .LBB1_116
.LBB1_75:                               ; =>This Inner Loop Header: Depth=1
	v_sub_u32_e32 v17, v18, v17
	v_cmp_lt_i32_e32 vcc, 15, v17
	s_and_saveexec_b64 s[0:1], vcc
	s_xor_b64 s[0:1], exec, s[0:1]
	s_cbranch_execz .LBB1_97
; %bb.76:                               ;   in Loop: Header=BB1_75 Depth=1
	v_cmp_lt_i32_e32 vcc, 63, v17
	s_and_saveexec_b64 s[20:21], vcc
	s_xor_b64 s[20:21], exec, s[20:21]
	s_cbranch_execz .LBB1_86
; %bb.77:                               ;   in Loop: Header=BB1_75 Depth=1
	;; [unrolled: 5-line block ×3, first 2 shown]
	v_cmp_eq_u32_e32 vcc, s27, v17
	s_and_saveexec_b64 s[24:25], vcc
; %bb.79:                               ;   in Loop: Header=BB1_75 Depth=1
	v_add_u32_e32 v10, -1, v10
; %bb.80:                               ;   in Loop: Header=BB1_75 Depth=1
	s_or_b64 exec, exec, s[24:25]
.LBB1_81:                               ;   in Loop: Header=BB1_75 Depth=1
	s_andn2_saveexec_b64 s[22:23], s[22:23]
	s_cbranch_execz .LBB1_85
; %bb.82:                               ;   in Loop: Header=BB1_75 Depth=1
	v_cmp_eq_u32_e32 vcc, 64, v17
	s_and_saveexec_b64 s[24:25], vcc
; %bb.83:                               ;   in Loop: Header=BB1_75 Depth=1
	v_add_u32_e32 v5, 1, v5
	v_add_u32_e32 v10, -1, v10
; %bb.84:                               ;   in Loop: Header=BB1_75 Depth=1
	s_or_b64 exec, exec, s[24:25]
.LBB1_85:                               ;   in Loop: Header=BB1_75 Depth=1
	s_or_b64 exec, exec, s[22:23]
.LBB1_86:                               ;   in Loop: Header=BB1_75 Depth=1
	s_andn2_saveexec_b64 s[20:21], s[20:21]
	s_cbranch_execz .LBB1_96
; %bb.87:                               ;   in Loop: Header=BB1_75 Depth=1
	v_cmp_lt_i32_e32 vcc, 31, v17
	s_and_saveexec_b64 s[22:23], vcc
	s_xor_b64 s[22:23], exec, s[22:23]
	s_cbranch_execz .LBB1_91
; %bb.88:                               ;   in Loop: Header=BB1_75 Depth=1
	v_cmp_eq_u32_e32 vcc, 32, v17
	s_and_saveexec_b64 s[24:25], vcc
; %bb.89:                               ;   in Loop: Header=BB1_75 Depth=1
	v_add_u32_e32 v5, 1, v5
; %bb.90:                               ;   in Loop: Header=BB1_75 Depth=1
	s_or_b64 exec, exec, s[24:25]
.LBB1_91:                               ;   in Loop: Header=BB1_75 Depth=1
	s_andn2_saveexec_b64 s[22:23], s[22:23]
	s_cbranch_execz .LBB1_95
; %bb.92:                               ;   in Loop: Header=BB1_75 Depth=1
	v_cmp_eq_u32_e32 vcc, 16, v17
	s_and_saveexec_b64 s[24:25], vcc
; %bb.93:                               ;   in Loop: Header=BB1_75 Depth=1
	v_add_u32_e32 v5, 1, v5
	v_add_u32_e32 v10, 1, v10
; %bb.94:                               ;   in Loop: Header=BB1_75 Depth=1
	s_or_b64 exec, exec, s[24:25]
.LBB1_95:                               ;   in Loop: Header=BB1_75 Depth=1
	s_or_b64 exec, exec, s[22:23]
.LBB1_96:                               ;   in Loop: Header=BB1_75 Depth=1
	s_or_b64 exec, exec, s[20:21]
.LBB1_97:                               ;   in Loop: Header=BB1_75 Depth=1
	s_andn2_saveexec_b64 s[0:1], s[0:1]
	s_cbranch_execz .LBB1_74
; %bb.98:                               ;   in Loop: Header=BB1_75 Depth=1
	v_cmp_lt_i32_e32 vcc, 3, v17
	s_and_saveexec_b64 s[20:21], vcc
	s_xor_b64 s[20:21], exec, s[20:21]
	s_cbranch_execz .LBB1_108
; %bb.99:                               ;   in Loop: Header=BB1_75 Depth=1
	v_cmp_lt_i32_e32 vcc, 7, v17
	s_and_saveexec_b64 s[22:23], vcc
	s_xor_b64 s[22:23], exec, s[22:23]
	s_cbranch_execz .LBB1_103
; %bb.100:                              ;   in Loop: Header=BB1_75 Depth=1
	v_cmp_eq_u32_e32 vcc, 8, v17
	s_and_saveexec_b64 s[24:25], vcc
; %bb.101:                              ;   in Loop: Header=BB1_75 Depth=1
	v_add_u32_e32 v10, 1, v10
; %bb.102:                              ;   in Loop: Header=BB1_75 Depth=1
	s_or_b64 exec, exec, s[24:25]
.LBB1_103:                              ;   in Loop: Header=BB1_75 Depth=1
	s_andn2_saveexec_b64 s[22:23], s[22:23]
	s_cbranch_execz .LBB1_107
; %bb.104:                              ;   in Loop: Header=BB1_75 Depth=1
	v_cmp_eq_u32_e32 vcc, 4, v17
	s_and_saveexec_b64 s[24:25], vcc
; %bb.105:                              ;   in Loop: Header=BB1_75 Depth=1
	v_add_u32_e32 v5, -1, v5
	v_add_u32_e32 v10, 1, v10
; %bb.106:                              ;   in Loop: Header=BB1_75 Depth=1
	s_or_b64 exec, exec, s[24:25]
.LBB1_107:                              ;   in Loop: Header=BB1_75 Depth=1
	s_or_b64 exec, exec, s[22:23]
.LBB1_108:                              ;   in Loop: Header=BB1_75 Depth=1
	s_andn2_saveexec_b64 s[20:21], s[20:21]
	s_cbranch_execz .LBB1_73
; %bb.109:                              ;   in Loop: Header=BB1_75 Depth=1
	v_cmp_lt_i32_e32 vcc, 1, v17
	s_and_saveexec_b64 s[22:23], vcc
	s_xor_b64 s[22:23], exec, s[22:23]
	s_cbranch_execz .LBB1_113
; %bb.110:                              ;   in Loop: Header=BB1_75 Depth=1
	v_cmp_eq_u32_e32 vcc, 2, v17
	s_and_saveexec_b64 s[24:25], vcc
; %bb.111:                              ;   in Loop: Header=BB1_75 Depth=1
	v_add_u32_e32 v5, -1, v5
; %bb.112:                              ;   in Loop: Header=BB1_75 Depth=1
	s_or_b64 exec, exec, s[24:25]
.LBB1_113:                              ;   in Loop: Header=BB1_75 Depth=1
	s_andn2_saveexec_b64 s[22:23], s[22:23]
	s_cbranch_execz .LBB1_72
; %bb.114:                              ;   in Loop: Header=BB1_75 Depth=1
	v_cmp_eq_u32_e32 vcc, 1, v17
	s_and_saveexec_b64 s[24:25], vcc
	s_cbranch_execz .LBB1_71
; %bb.115:                              ;   in Loop: Header=BB1_75 Depth=1
	v_add_u32_e32 v5, -1, v5
	v_add_u32_e32 v10, -1, v10
	s_branch .LBB1_71
.LBB1_116:
	s_or_b64 exec, exec, s[18:19]
.LBB1_117:
	s_or_b64 exec, exec, s[16:17]
	global_load_dword v5, v[8:9], off offset:4
	s_waitcnt vmcnt(0)
	v_and_b32_e32 v8, 0xff, v5
	v_bcnt_u32_b32 v5, v8, 0
	v_cmp_eq_u32_e32 vcc, 2, v5
	s_and_b64 s[2:3], vcc, s[2:3]
	v_mov_b32_e32 v5, 1
	s_and_saveexec_b64 s[0:1], s[2:3]
	s_cbranch_execz .LBB1_165
; %bb.118:
	s_mov_b32 s26, 1
	v_mov_b32_e32 v9, 64
	s_mov_b64 s[2:3], 0
	s_movk_i32 s27, 0x7f
	s_movk_i32 s28, 0x80
	s_branch .LBB1_120
.LBB1_119:                              ;   in Loop: Header=BB1_120 Depth=1
	s_or_b64 exec, exec, s[18:19]
	v_mad_u64_u32 v[8:9], s[16:17], v16, s10, v[6:7]
	v_ashrrev_i32_e32 v9, 31, v8
	v_lshl_add_u64 v[8:9], v[8:9], 2, s[4:5]
	global_load_dword v8, v[8:9], off
	s_add_i32 s26, s26, 1
	v_lshrrev_b32_e32 v9, 4, v5
	v_lshlrev_b32_e32 v10, 4, v5
	v_cmp_lt_u32_e32 vcc, 8, v5
	s_cmp_ge_i32 s26, s11
	s_cselect_b64 s[16:17], -1, 0
	v_cndmask_b32_e32 v9, v10, v9, vcc
	s_waitcnt vmcnt(0)
	v_and_b32_e32 v8, 0xff, v8
	v_bcnt_u32_b32 v5, v8, 0
	v_cmp_ne_u32_e32 vcc, 2, v5
	s_or_b64 s[16:17], vcc, s[16:17]
	s_and_b64 s[16:17], exec, s[16:17]
	s_or_b64 s[2:3], s[16:17], s[2:3]
	v_mov_b32_e32 v5, s26
	s_andn2_b64 exec, exec, s[2:3]
	s_cbranch_execz .LBB1_164
.LBB1_120:                              ; =>This Inner Loop Header: Depth=1
	v_sub_u32_e32 v5, v8, v9
	v_cmp_lt_i32_e32 vcc, 15, v5
	s_mov_b64 s[16:17], 0
                                        ; implicit-def: $vgpr8
                                        ; implicit-def: $vgpr9
	s_and_saveexec_b64 s[18:19], vcc
	s_xor_b64 s[18:19], exec, s[18:19]
	s_cbranch_execnz .LBB1_123
; %bb.121:                              ;   in Loop: Header=BB1_120 Depth=1
	s_andn2_saveexec_b64 s[18:19], s[18:19]
	s_cbranch_execnz .LBB1_144
.LBB1_122:                              ;   in Loop: Header=BB1_120 Depth=1
	s_or_b64 exec, exec, s[18:19]
	s_and_saveexec_b64 s[18:19], s[16:17]
	s_cbranch_execz .LBB1_119
	s_branch .LBB1_163
.LBB1_123:                              ;   in Loop: Header=BB1_120 Depth=1
	v_cmp_lt_i32_e32 vcc, 63, v5
                                        ; implicit-def: $vgpr8
                                        ; implicit-def: $vgpr9
	s_and_saveexec_b64 s[20:21], vcc
	s_xor_b64 s[20:21], exec, s[20:21]
	s_cbranch_execz .LBB1_133
; %bb.124:                              ;   in Loop: Header=BB1_120 Depth=1
	v_cmp_lt_i32_e32 vcc, s27, v5
	s_and_saveexec_b64 s[16:17], vcc
	s_xor_b64 s[16:17], exec, s[16:17]
	s_cbranch_execz .LBB1_128
; %bb.125:                              ;   in Loop: Header=BB1_120 Depth=1
	v_cmp_eq_u32_e32 vcc, s28, v5
	s_and_saveexec_b64 s[22:23], vcc
; %bb.126:                              ;   in Loop: Header=BB1_120 Depth=1
	v_add_u32_e32 v6, -1, v6
; %bb.127:                              ;   in Loop: Header=BB1_120 Depth=1
	s_or_b64 exec, exec, s[22:23]
.LBB1_128:                              ;   in Loop: Header=BB1_120 Depth=1
	s_or_saveexec_b64 s[16:17], s[16:17]
	s_mov_b64 s[22:23], 0
                                        ; implicit-def: $vgpr8
                                        ; implicit-def: $vgpr9
	s_xor_b64 exec, exec, s[16:17]
	s_cbranch_execz .LBB1_132
; %bb.129:                              ;   in Loop: Header=BB1_120 Depth=1
	v_cmp_eq_u32_e32 vcc, 64, v5
                                        ; implicit-def: $vgpr8
                                        ; implicit-def: $vgpr9
	s_and_saveexec_b64 s[24:25], vcc
; %bb.130:                              ;   in Loop: Header=BB1_120 Depth=1
	s_mov_b64 s[22:23], exec
	v_add_u32_e32 v9, 1, v16
	v_add_u32_e32 v8, -1, v6
; %bb.131:                              ;   in Loop: Header=BB1_120 Depth=1
	s_or_b64 exec, exec, s[24:25]
	s_and_b64 s[22:23], s[22:23], exec
.LBB1_132:                              ;   in Loop: Header=BB1_120 Depth=1
	s_or_b64 exec, exec, s[16:17]
	s_and_b64 s[16:17], s[22:23], exec
.LBB1_133:                              ;   in Loop: Header=BB1_120 Depth=1
	s_andn2_saveexec_b64 s[20:21], s[20:21]
	s_cbranch_execz .LBB1_143
; %bb.134:                              ;   in Loop: Header=BB1_120 Depth=1
	v_cmp_lt_i32_e32 vcc, 31, v5
	s_and_saveexec_b64 s[22:23], vcc
	s_xor_b64 s[22:23], exec, s[22:23]
	s_cbranch_execz .LBB1_138
; %bb.135:                              ;   in Loop: Header=BB1_120 Depth=1
	v_cmp_eq_u32_e32 vcc, 32, v5
	s_and_saveexec_b64 s[24:25], vcc
; %bb.136:                              ;   in Loop: Header=BB1_120 Depth=1
	v_add_u32_e32 v16, 1, v16
; %bb.137:                              ;   in Loop: Header=BB1_120 Depth=1
	s_or_b64 exec, exec, s[24:25]
.LBB1_138:                              ;   in Loop: Header=BB1_120 Depth=1
	s_andn2_saveexec_b64 s[22:23], s[22:23]
	s_cbranch_execz .LBB1_142
; %bb.139:                              ;   in Loop: Header=BB1_120 Depth=1
	v_cmp_eq_u32_e32 vcc, 16, v5
	s_and_saveexec_b64 s[24:25], vcc
; %bb.140:                              ;   in Loop: Header=BB1_120 Depth=1
	v_add_u32_e32 v16, 1, v16
	v_add_u32_e32 v6, 1, v6
; %bb.141:                              ;   in Loop: Header=BB1_120 Depth=1
	s_or_b64 exec, exec, s[24:25]
.LBB1_142:                              ;   in Loop: Header=BB1_120 Depth=1
	s_or_b64 exec, exec, s[22:23]
.LBB1_143:                              ;   in Loop: Header=BB1_120 Depth=1
	s_or_b64 exec, exec, s[20:21]
	s_and_b64 s[16:17], s[16:17], exec
	s_andn2_saveexec_b64 s[18:19], s[18:19]
	s_cbranch_execz .LBB1_122
.LBB1_144:                              ;   in Loop: Header=BB1_120 Depth=1
	v_cmp_lt_i32_e32 vcc, 3, v5
                                        ; implicit-def: $vgpr17
                                        ; implicit-def: $vgpr10
	s_and_saveexec_b64 s[20:21], vcc
	s_xor_b64 s[20:21], exec, s[20:21]
	s_cbranch_execz .LBB1_154
; %bb.145:                              ;   in Loop: Header=BB1_120 Depth=1
	v_cmp_lt_i32_e32 vcc, 7, v5
                                        ; implicit-def: $vgpr17
	s_and_saveexec_b64 s[22:23], vcc
	s_xor_b64 s[22:23], exec, s[22:23]
	s_cbranch_execz .LBB1_149
; %bb.146:                              ;   in Loop: Header=BB1_120 Depth=1
	v_cmp_eq_u32_e32 vcc, 8, v5
	v_mov_b32_e32 v17, v6
	s_and_saveexec_b64 s[24:25], vcc
; %bb.147:                              ;   in Loop: Header=BB1_120 Depth=1
	v_add_u32_e32 v17, 1, v6
; %bb.148:                              ;   in Loop: Header=BB1_120 Depth=1
	s_or_b64 exec, exec, s[24:25]
.LBB1_149:                              ;   in Loop: Header=BB1_120 Depth=1
	s_or_saveexec_b64 s[22:23], s[22:23]
	v_mov_b32_e32 v10, v16
	s_xor_b64 exec, exec, s[22:23]
	s_cbranch_execz .LBB1_153
; %bb.150:                              ;   in Loop: Header=BB1_120 Depth=1
	v_cmp_eq_u32_e32 vcc, 4, v5
	v_mov_b32_e32 v17, v6
	v_mov_b32_e32 v10, v16
	s_and_saveexec_b64 s[24:25], vcc
; %bb.151:                              ;   in Loop: Header=BB1_120 Depth=1
	v_add_u32_e32 v10, -1, v16
	v_add_u32_e32 v17, 1, v6
; %bb.152:                              ;   in Loop: Header=BB1_120 Depth=1
	s_or_b64 exec, exec, s[24:25]
.LBB1_153:                              ;   in Loop: Header=BB1_120 Depth=1
	s_or_b64 exec, exec, s[22:23]
.LBB1_154:                              ;   in Loop: Header=BB1_120 Depth=1
	s_or_saveexec_b64 s[20:21], s[20:21]
	s_mov_b64 s[22:23], s[16:17]
	s_xor_b64 exec, exec, s[20:21]
	s_cbranch_execz .LBB1_162
; %bb.155:                              ;   in Loop: Header=BB1_120 Depth=1
	v_cmp_lt_i32_e32 vcc, 1, v5
                                        ; implicit-def: $vgpr10
	s_and_saveexec_b64 s[22:23], vcc
	s_xor_b64 s[22:23], exec, s[22:23]
	s_cbranch_execz .LBB1_159
; %bb.156:                              ;   in Loop: Header=BB1_120 Depth=1
	v_cmp_eq_u32_e32 vcc, 2, v5
	v_mov_b32_e32 v10, v16
	s_and_saveexec_b64 s[24:25], vcc
; %bb.157:                              ;   in Loop: Header=BB1_120 Depth=1
	v_add_u32_e32 v10, -1, v16
; %bb.158:                              ;   in Loop: Header=BB1_120 Depth=1
	s_or_b64 exec, exec, s[24:25]
.LBB1_159:                              ;   in Loop: Header=BB1_120 Depth=1
	s_or_saveexec_b64 s[22:23], s[22:23]
	s_mov_b64 s[24:25], s[16:17]
	s_xor_b64 exec, exec, s[22:23]
; %bb.160:                              ;   in Loop: Header=BB1_120 Depth=1
	v_cmp_eq_u32_e32 vcc, 1, v5
	s_andn2_b64 s[24:25], s[16:17], exec
	s_and_b64 s[30:31], vcc, exec
	s_or_b64 s[24:25], s[24:25], s[30:31]
	v_mov_b32_e32 v10, v16
; %bb.161:                              ;   in Loop: Header=BB1_120 Depth=1
	s_or_b64 exec, exec, s[22:23]
	s_andn2_b64 s[22:23], s[16:17], exec
	s_and_b64 s[24:25], s[24:25], exec
	s_or_b64 s[22:23], s[22:23], s[24:25]
	v_mov_b32_e32 v17, v6
.LBB1_162:                              ;   in Loop: Header=BB1_120 Depth=1
	s_or_b64 exec, exec, s[20:21]
	s_andn2_b64 s[16:17], s[16:17], exec
	s_and_b64 s[20:21], s[22:23], exec
	s_or_b64 s[16:17], s[16:17], s[20:21]
	v_mov_b32_e32 v8, v6
	v_mov_b32_e32 v9, v16
	;; [unrolled: 1-line block ×4, first 2 shown]
	s_or_b64 exec, exec, s[18:19]
	s_and_saveexec_b64 s[18:19], s[16:17]
	s_cbranch_execz .LBB1_119
.LBB1_163:                              ;   in Loop: Header=BB1_120 Depth=1
	v_add_u32_e32 v16, -1, v9
	v_add_u32_e32 v6, -1, v8
	s_branch .LBB1_119
.LBB1_164:
	s_or_b64 exec, exec, s[2:3]
.LBB1_165:
	s_or_b64 exec, exec, s[0:1]
	v_add_u32_e32 v8, v4, v2
	v_ashrrev_i32_e32 v9, 31, v8
	v_lshl_add_u64 v[8:9], v[8:9], 2, s[4:5]
	global_load_dword v4, v[8:9], off
	v_cmp_gt_i32_e64 s[0:1], s11, v5
	s_waitcnt vmcnt(0)
	v_and_b32_e32 v6, 0xff, v4
	v_bcnt_u32_b32 v4, v6, 0
	v_cmp_eq_u32_e32 vcc, 2, v4
	s_and_b64 s[0:1], vcc, s[0:1]
	s_and_saveexec_b64 s[2:3], s[0:1]
	s_cbranch_execz .LBB1_213
; %bb.166:
	v_mov_b32_e32 v4, 4
	s_mov_b64 s[16:17], 0
	s_movk_i32 s24, 0x7f
	s_movk_i32 s25, 0x80
	s_branch .LBB1_171
.LBB1_167:                              ;   in Loop: Header=BB1_171 Depth=1
	s_or_b64 exec, exec, s[22:23]
.LBB1_168:                              ;   in Loop: Header=BB1_171 Depth=1
	s_or_b64 exec, exec, s[20:21]
.LBB1_169:                              ;   in Loop: Header=BB1_171 Depth=1
	s_or_b64 exec, exec, s[18:19]
.LBB1_170:                              ;   in Loop: Header=BB1_171 Depth=1
	s_or_b64 exec, exec, s[0:1]
	v_mad_u64_u32 v[8:9], s[0:1], v3, s10, v[2:3]
	v_ashrrev_i32_e32 v9, 31, v8
	v_lshl_add_u64 v[8:9], v[8:9], 2, s[4:5]
	global_load_dword v6, v[8:9], off
	v_add_u32_e32 v5, 1, v5
	v_cmp_le_i32_e32 vcc, s11, v5
	v_lshrrev_b32_e32 v8, 4, v4
	v_lshlrev_b32_e32 v9, 4, v4
	s_waitcnt vmcnt(0)
	v_and_b32_e32 v6, 0xff, v6
	v_bcnt_u32_b32 v10, v6, 0
	v_cmp_ne_u32_e64 s[0:1], 2, v10
	s_or_b64 s[0:1], s[0:1], vcc
	s_and_b64 s[0:1], exec, s[0:1]
	v_cmp_lt_u32_e32 vcc, 8, v4
	s_or_b64 s[16:17], s[0:1], s[16:17]
	s_nop 0
	v_cndmask_b32_e32 v4, v9, v8, vcc
	s_andn2_b64 exec, exec, s[16:17]
	s_cbranch_execz .LBB1_212
.LBB1_171:                              ; =>This Inner Loop Header: Depth=1
	v_sub_u32_e32 v4, v6, v4
	v_cmp_lt_i32_e32 vcc, 15, v4
	s_and_saveexec_b64 s[0:1], vcc
	s_xor_b64 s[0:1], exec, s[0:1]
	s_cbranch_execz .LBB1_193
; %bb.172:                              ;   in Loop: Header=BB1_171 Depth=1
	v_cmp_lt_i32_e32 vcc, 63, v4
	s_and_saveexec_b64 s[18:19], vcc
	s_xor_b64 s[18:19], exec, s[18:19]
	s_cbranch_execz .LBB1_182
; %bb.173:                              ;   in Loop: Header=BB1_171 Depth=1
	v_cmp_lt_i32_e32 vcc, s24, v4
	s_and_saveexec_b64 s[20:21], vcc
	s_xor_b64 s[20:21], exec, s[20:21]
	s_cbranch_execz .LBB1_177
; %bb.174:                              ;   in Loop: Header=BB1_171 Depth=1
	v_cmp_eq_u32_e32 vcc, s25, v4
	s_and_saveexec_b64 s[22:23], vcc
; %bb.175:                              ;   in Loop: Header=BB1_171 Depth=1
	v_add_u32_e32 v2, -1, v2
; %bb.176:                              ;   in Loop: Header=BB1_171 Depth=1
	s_or_b64 exec, exec, s[22:23]
.LBB1_177:                              ;   in Loop: Header=BB1_171 Depth=1
	s_andn2_saveexec_b64 s[20:21], s[20:21]
	s_cbranch_execz .LBB1_181
; %bb.178:                              ;   in Loop: Header=BB1_171 Depth=1
	v_cmp_eq_u32_e32 vcc, 64, v4
	s_and_saveexec_b64 s[22:23], vcc
; %bb.179:                              ;   in Loop: Header=BB1_171 Depth=1
	v_add_u32_e32 v3, 1, v3
	v_add_u32_e32 v2, -1, v2
; %bb.180:                              ;   in Loop: Header=BB1_171 Depth=1
	s_or_b64 exec, exec, s[22:23]
.LBB1_181:                              ;   in Loop: Header=BB1_171 Depth=1
	s_or_b64 exec, exec, s[20:21]
.LBB1_182:                              ;   in Loop: Header=BB1_171 Depth=1
	s_andn2_saveexec_b64 s[18:19], s[18:19]
	s_cbranch_execz .LBB1_192
; %bb.183:                              ;   in Loop: Header=BB1_171 Depth=1
	v_cmp_lt_i32_e32 vcc, 31, v4
	s_and_saveexec_b64 s[20:21], vcc
	s_xor_b64 s[20:21], exec, s[20:21]
	s_cbranch_execz .LBB1_187
; %bb.184:                              ;   in Loop: Header=BB1_171 Depth=1
	v_cmp_eq_u32_e32 vcc, 32, v4
	s_and_saveexec_b64 s[22:23], vcc
; %bb.185:                              ;   in Loop: Header=BB1_171 Depth=1
	v_add_u32_e32 v3, 1, v3
; %bb.186:                              ;   in Loop: Header=BB1_171 Depth=1
	s_or_b64 exec, exec, s[22:23]
.LBB1_187:                              ;   in Loop: Header=BB1_171 Depth=1
	s_andn2_saveexec_b64 s[20:21], s[20:21]
	s_cbranch_execz .LBB1_191
; %bb.188:                              ;   in Loop: Header=BB1_171 Depth=1
	v_cmp_eq_u32_e32 vcc, 16, v4
	s_and_saveexec_b64 s[22:23], vcc
; %bb.189:                              ;   in Loop: Header=BB1_171 Depth=1
	v_add_u32_e32 v3, 1, v3
	v_add_u32_e32 v2, 1, v2
; %bb.190:                              ;   in Loop: Header=BB1_171 Depth=1
	s_or_b64 exec, exec, s[22:23]
.LBB1_191:                              ;   in Loop: Header=BB1_171 Depth=1
	s_or_b64 exec, exec, s[20:21]
.LBB1_192:                              ;   in Loop: Header=BB1_171 Depth=1
	s_or_b64 exec, exec, s[18:19]
.LBB1_193:                              ;   in Loop: Header=BB1_171 Depth=1
	s_andn2_saveexec_b64 s[0:1], s[0:1]
	s_cbranch_execz .LBB1_170
; %bb.194:                              ;   in Loop: Header=BB1_171 Depth=1
	v_cmp_lt_i32_e32 vcc, 3, v4
	s_and_saveexec_b64 s[18:19], vcc
	s_xor_b64 s[18:19], exec, s[18:19]
	s_cbranch_execz .LBB1_204
; %bb.195:                              ;   in Loop: Header=BB1_171 Depth=1
	v_cmp_lt_i32_e32 vcc, 7, v4
	s_and_saveexec_b64 s[20:21], vcc
	s_xor_b64 s[20:21], exec, s[20:21]
	s_cbranch_execz .LBB1_199
; %bb.196:                              ;   in Loop: Header=BB1_171 Depth=1
	v_cmp_eq_u32_e32 vcc, 8, v4
	s_and_saveexec_b64 s[22:23], vcc
; %bb.197:                              ;   in Loop: Header=BB1_171 Depth=1
	v_add_u32_e32 v2, 1, v2
; %bb.198:                              ;   in Loop: Header=BB1_171 Depth=1
	s_or_b64 exec, exec, s[22:23]
.LBB1_199:                              ;   in Loop: Header=BB1_171 Depth=1
	s_andn2_saveexec_b64 s[20:21], s[20:21]
	s_cbranch_execz .LBB1_203
; %bb.200:                              ;   in Loop: Header=BB1_171 Depth=1
	v_cmp_eq_u32_e32 vcc, 4, v4
	s_and_saveexec_b64 s[22:23], vcc
; %bb.201:                              ;   in Loop: Header=BB1_171 Depth=1
	v_add_u32_e32 v3, -1, v3
	v_add_u32_e32 v2, 1, v2
; %bb.202:                              ;   in Loop: Header=BB1_171 Depth=1
	s_or_b64 exec, exec, s[22:23]
.LBB1_203:                              ;   in Loop: Header=BB1_171 Depth=1
	s_or_b64 exec, exec, s[20:21]
.LBB1_204:                              ;   in Loop: Header=BB1_171 Depth=1
	s_andn2_saveexec_b64 s[18:19], s[18:19]
	s_cbranch_execz .LBB1_169
; %bb.205:                              ;   in Loop: Header=BB1_171 Depth=1
	v_cmp_lt_i32_e32 vcc, 1, v4
	s_and_saveexec_b64 s[20:21], vcc
	s_xor_b64 s[20:21], exec, s[20:21]
	s_cbranch_execz .LBB1_209
; %bb.206:                              ;   in Loop: Header=BB1_171 Depth=1
	v_cmp_eq_u32_e32 vcc, 2, v4
	s_and_saveexec_b64 s[22:23], vcc
; %bb.207:                              ;   in Loop: Header=BB1_171 Depth=1
	v_add_u32_e32 v3, -1, v3
; %bb.208:                              ;   in Loop: Header=BB1_171 Depth=1
	s_or_b64 exec, exec, s[22:23]
.LBB1_209:                              ;   in Loop: Header=BB1_171 Depth=1
	s_andn2_saveexec_b64 s[20:21], s[20:21]
	s_cbranch_execz .LBB1_168
; %bb.210:                              ;   in Loop: Header=BB1_171 Depth=1
	v_cmp_eq_u32_e32 vcc, 1, v4
	s_and_saveexec_b64 s[22:23], vcc
	s_cbranch_execz .LBB1_167
; %bb.211:                              ;   in Loop: Header=BB1_171 Depth=1
	v_add_u32_e32 v3, -1, v3
	v_add_u32_e32 v2, -1, v2
	s_branch .LBB1_167
.LBB1_212:
	s_or_b64 exec, exec, s[16:17]
.LBB1_213:
	s_or_b64 exec, exec, s[2:3]
	v_cmp_eq_u32_e32 vcc, 16, v11
	v_sub_u32_e32 v4, v15, v14
	v_sub_u32_e32 v6, v14, v15
	v_cndmask_b32_e64 v2, 0, 5, vcc
	v_cmp_eq_u32_e32 vcc, 64, v12
	v_sub_u32_e64 v8, v7, v5 clamp
	v_sub_u32_e64 v5, v5, v7 clamp
	v_cndmask_b32_e64 v3, 0, 5, vcc
	v_cmp_gt_i32_e32 vcc, v15, v14
	s_mov_b64 s[2:3], 0
	s_nop 0
	v_cndmask_b32_e32 v4, 0, v4, vcc
	v_cmp_lt_i32_e32 vcc, v15, v14
	v_add3_u32 v3, v4, v3, v5
                                        ; implicit-def: $vgpr4
	s_nop 0
	v_cndmask_b32_e32 v6, 0, v6, vcc
	v_add3_u32 v2, v6, v2, v8
	v_cmp_le_i32_e32 vcc, v2, v3
	s_and_saveexec_b64 s[0:1], vcc
	s_xor_b64 s[0:1], exec, s[0:1]
	s_cbranch_execz .LBB1_217
; %bb.214:
	v_cmp_gt_i32_e32 vcc, v3, v2
	s_mov_b64 s[2:3], -1
                                        ; implicit-def: $vgpr4
	s_and_saveexec_b64 s[4:5], vcc
	s_xor_b64 s[4:5], exec, s[4:5]
; %bb.215:
	v_and_b32_e32 v2, 0xffffff00, v11
	v_or3_b32 v4, v2, v13, 32
	s_xor_b64 s[2:3], exec, -1
; %bb.216:
	s_or_b64 exec, exec, s[4:5]
	s_and_b64 s[2:3], s[2:3], exec
.LBB1_217:
	s_andn2_saveexec_b64 s[0:1], s[0:1]
; %bb.218:
	s_movk_i32 s4, 0xff10
	v_and_or_b32 v4, v11, s4, v13
; %bb.219:
	s_or_b64 exec, exec, s[0:1]
	s_and_b64 s[0:1], s[2:3], exec
.LBB1_220:
	s_or_b64 exec, exec, s[14:15]
	s_orn2_b64 s[0:1], s[0:1], exec
.LBB1_221:
	s_or_b64 exec, exec, s[12:13]
	s_mov_b64 s[2:3], 0
	v_mov_b32_e32 v5, 0
	s_and_saveexec_b64 s[4:5], s[0:1]
; %bb.222:
	v_lshrrev_b32_e32 v3, 1, v12
	v_and_b32_e32 v2, 16, v11
	v_and_b32_e32 v3, 32, v3
	s_mov_b64 s[2:3], exec
	v_or3_b32 v5, v2, v3, v13
; %bb.223:
	s_or_b64 exec, exec, s[4:5]
	s_orn2_b64 s[0:1], s[2:3], exec
	s_or_b64 exec, exec, s[8:9]
	s_and_saveexec_b64 s[2:3], s[0:1]
	s_cbranch_execz .LBB1_2
.LBB1_224:
	s_movk_i32 s0, 0xff00
	s_waitcnt vmcnt(0)
	v_and_or_b32 v4, v11, s0, v5
	s_or_b64 exec, exec, s[2:3]
	v_lshl_add_u64 v[0:1], v[0:1], 2, s[6:7]
	global_store_dword v[0:1], v4, off
	s_endpgm
	.section	.rodata,"a",@progbits
	.p2align	6, 0x0
	.amdhsa_kernel _Z17eliminate_crossesPKjPjii
		.amdhsa_group_segment_fixed_size 0
		.amdhsa_private_segment_fixed_size 0
		.amdhsa_kernarg_size 280
		.amdhsa_user_sgpr_count 2
		.amdhsa_user_sgpr_dispatch_ptr 0
		.amdhsa_user_sgpr_queue_ptr 0
		.amdhsa_user_sgpr_kernarg_segment_ptr 1
		.amdhsa_user_sgpr_dispatch_id 0
		.amdhsa_user_sgpr_kernarg_preload_length 0
		.amdhsa_user_sgpr_kernarg_preload_offset 0
		.amdhsa_user_sgpr_private_segment_size 0
		.amdhsa_uses_dynamic_stack 0
		.amdhsa_enable_private_segment 0
		.amdhsa_system_sgpr_workgroup_id_x 1
		.amdhsa_system_sgpr_workgroup_id_y 0
		.amdhsa_system_sgpr_workgroup_id_z 0
		.amdhsa_system_sgpr_workgroup_info 0
		.amdhsa_system_vgpr_workitem_id 0
		.amdhsa_next_free_vgpr 25
		.amdhsa_next_free_sgpr 32
		.amdhsa_accum_offset 28
		.amdhsa_reserve_vcc 1
		.amdhsa_float_round_mode_32 0
		.amdhsa_float_round_mode_16_64 0
		.amdhsa_float_denorm_mode_32 3
		.amdhsa_float_denorm_mode_16_64 3
		.amdhsa_dx10_clamp 1
		.amdhsa_ieee_mode 1
		.amdhsa_fp16_overflow 0
		.amdhsa_tg_split 0
		.amdhsa_exception_fp_ieee_invalid_op 0
		.amdhsa_exception_fp_denorm_src 0
		.amdhsa_exception_fp_ieee_div_zero 0
		.amdhsa_exception_fp_ieee_overflow 0
		.amdhsa_exception_fp_ieee_underflow 0
		.amdhsa_exception_fp_ieee_inexact 0
		.amdhsa_exception_int_div_zero 0
	.end_amdhsa_kernel
	.text
.Lfunc_end1:
	.size	_Z17eliminate_crossesPKjPjii, .Lfunc_end1-_Z17eliminate_crossesPKjPjii
                                        ; -- End function
	.set _Z17eliminate_crossesPKjPjii.num_vgpr, 25
	.set _Z17eliminate_crossesPKjPjii.num_agpr, 0
	.set _Z17eliminate_crossesPKjPjii.numbered_sgpr, 32
	.set _Z17eliminate_crossesPKjPjii.num_named_barrier, 0
	.set _Z17eliminate_crossesPKjPjii.private_seg_size, 0
	.set _Z17eliminate_crossesPKjPjii.uses_vcc, 1
	.set _Z17eliminate_crossesPKjPjii.uses_flat_scratch, 0
	.set _Z17eliminate_crossesPKjPjii.has_dyn_sized_stack, 0
	.set _Z17eliminate_crossesPKjPjii.has_recursion, 0
	.set _Z17eliminate_crossesPKjPjii.has_indirect_call, 0
	.section	.AMDGPU.csdata,"",@progbits
; Kernel info:
; codeLenInByte = 3636
; TotalNumSgprs: 38
; NumVgprs: 25
; NumAgprs: 0
; TotalNumVgprs: 25
; ScratchSize: 0
; MemoryBound: 0
; FloatMode: 240
; IeeeMode: 1
; LDSByteSize: 0 bytes/workgroup (compile time only)
; SGPRBlocks: 4
; VGPRBlocks: 3
; NumSGPRsForWavesPerEU: 38
; NumVGPRsForWavesPerEU: 25
; AccumOffset: 28
; Occupancy: 8
; WaveLimiterHint : 0
; COMPUTE_PGM_RSRC2:SCRATCH_EN: 0
; COMPUTE_PGM_RSRC2:USER_SGPR: 2
; COMPUTE_PGM_RSRC2:TRAP_HANDLER: 0
; COMPUTE_PGM_RSRC2:TGID_X_EN: 1
; COMPUTE_PGM_RSRC2:TGID_Y_EN: 0
; COMPUTE_PGM_RSRC2:TGID_Z_EN: 0
; COMPUTE_PGM_RSRC2:TIDIG_COMP_CNT: 0
; COMPUTE_PGM_RSRC3_GFX90A:ACCUM_OFFSET: 6
; COMPUTE_PGM_RSRC3_GFX90A:TG_SPLIT: 0
	.text
	.p2alignl 6, 3212836864
	.fill 256, 4, 3212836864
	.section	.AMDGPU.gpr_maximums,"",@progbits
	.set amdgpu.max_num_vgpr, 0
	.set amdgpu.max_num_agpr, 0
	.set amdgpu.max_num_sgpr, 0
	.text
	.type	__hip_cuid_35464fabe3d37eda,@object ; @__hip_cuid_35464fabe3d37eda
	.section	.bss,"aw",@nobits
	.globl	__hip_cuid_35464fabe3d37eda
__hip_cuid_35464fabe3d37eda:
	.byte	0                               ; 0x0
	.size	__hip_cuid_35464fabe3d37eda, 1

	.ident	"AMD clang version 22.0.0git (https://github.com/RadeonOpenCompute/llvm-project roc-7.2.4 26084 f58b06dce1f9c15707c5f808fd002e18c2accf7e)"
	.section	".note.GNU-stack","",@progbits
	.addrsig
	.addrsig_sym __hip_cuid_35464fabe3d37eda
	.amdgpu_metadata
---
amdhsa.kernels:
  - .agpr_count:     0
    .args:
      - .actual_access:  read_only
        .address_space:  global
        .offset:         0
        .size:           8
        .value_kind:     global_buffer
      - .actual_access:  write_only
        .address_space:  global
        .offset:         8
        .size:           8
        .value_kind:     global_buffer
      - .offset:         16
        .size:           4
        .value_kind:     by_value
      - .offset:         20
        .size:           4
        .value_kind:     by_value
      - .offset:         24
        .size:           4
        .value_kind:     hidden_block_count_x
      - .offset:         28
        .size:           4
        .value_kind:     hidden_block_count_y
      - .offset:         32
        .size:           4
        .value_kind:     hidden_block_count_z
      - .offset:         36
        .size:           2
        .value_kind:     hidden_group_size_x
      - .offset:         38
        .size:           2
        .value_kind:     hidden_group_size_y
      - .offset:         40
        .size:           2
        .value_kind:     hidden_group_size_z
      - .offset:         42
        .size:           2
        .value_kind:     hidden_remainder_x
      - .offset:         44
        .size:           2
        .value_kind:     hidden_remainder_y
      - .offset:         46
        .size:           2
        .value_kind:     hidden_remainder_z
      - .offset:         64
        .size:           8
        .value_kind:     hidden_global_offset_x
      - .offset:         72
        .size:           8
        .value_kind:     hidden_global_offset_y
      - .offset:         80
        .size:           8
        .value_kind:     hidden_global_offset_z
      - .offset:         88
        .size:           2
        .value_kind:     hidden_grid_dims
    .group_segment_fixed_size: 0
    .kernarg_segment_align: 8
    .kernarg_segment_size: 280
    .language:       OpenCL C
    .language_version:
      - 2
      - 0
    .max_flat_workgroup_size: 1024
    .name:           _Z13check_connectPK15HIP_vector_typeIfLj3EEPjii
    .private_segment_fixed_size: 0
    .sgpr_count:     28
    .sgpr_spill_count: 0
    .symbol:         _Z13check_connectPK15HIP_vector_typeIfLj3EEPjii.kd
    .uniform_work_group_size: 1
    .uses_dynamic_stack: false
    .vgpr_count:     22
    .vgpr_spill_count: 0
    .wavefront_size: 64
  - .agpr_count:     0
    .args:
      - .actual_access:  read_only
        .address_space:  global
        .offset:         0
        .size:           8
        .value_kind:     global_buffer
      - .actual_access:  write_only
        .address_space:  global
        .offset:         8
        .size:           8
        .value_kind:     global_buffer
      - .offset:         16
        .size:           4
        .value_kind:     by_value
      - .offset:         20
        .size:           4
        .value_kind:     by_value
      - .offset:         24
        .size:           4
        .value_kind:     hidden_block_count_x
      - .offset:         28
        .size:           4
        .value_kind:     hidden_block_count_y
      - .offset:         32
        .size:           4
        .value_kind:     hidden_block_count_z
      - .offset:         36
        .size:           2
        .value_kind:     hidden_group_size_x
      - .offset:         38
        .size:           2
        .value_kind:     hidden_group_size_y
      - .offset:         40
        .size:           2
        .value_kind:     hidden_group_size_z
      - .offset:         42
        .size:           2
        .value_kind:     hidden_remainder_x
      - .offset:         44
        .size:           2
        .value_kind:     hidden_remainder_y
      - .offset:         46
        .size:           2
        .value_kind:     hidden_remainder_z
      - .offset:         64
        .size:           8
        .value_kind:     hidden_global_offset_x
      - .offset:         72
        .size:           8
        .value_kind:     hidden_global_offset_y
      - .offset:         80
        .size:           8
        .value_kind:     hidden_global_offset_z
      - .offset:         88
        .size:           2
        .value_kind:     hidden_grid_dims
    .group_segment_fixed_size: 0
    .kernarg_segment_align: 8
    .kernarg_segment_size: 280
    .language:       OpenCL C
    .language_version:
      - 2
      - 0
    .max_flat_workgroup_size: 1024
    .name:           _Z17eliminate_crossesPKjPjii
    .private_segment_fixed_size: 0
    .sgpr_count:     38
    .sgpr_spill_count: 0
    .symbol:         _Z17eliminate_crossesPKjPjii.kd
    .uniform_work_group_size: 1
    .uses_dynamic_stack: false
    .vgpr_count:     25
    .vgpr_spill_count: 0
    .wavefront_size: 64
amdhsa.target:   amdgcn-amd-amdhsa--gfx950
amdhsa.version:
  - 1
  - 2
...

	.end_amdgpu_metadata
